;; amdgpu-corpus repo=ROCm/composable_kernel kind=compiled arch=gfx1201 opt=O3
	.amdgcn_target "amdgcn-amd-amdhsa--gfx1201"
	.amdhsa_code_object_version 6
	.section	.text._ZN2ckL12flush_icacheEv,"axG",@progbits,_ZN2ckL12flush_icacheEv,comdat
	.globl	_ZN2ckL12flush_icacheEv         ; -- Begin function _ZN2ckL12flush_icacheEv
	.p2align	8
	.type	_ZN2ckL12flush_icacheEv,@function
_ZN2ckL12flush_icacheEv:                ; @_ZN2ckL12flush_icacheEv
; %bb.0:
	;;#ASMSTART
	s_icache_inv 
	s_nop 0 
	s_nop 0 
	;; [unrolled: 1-line block ×16, first 2 shown]
	
	;;#ASMEND
	s_endpgm
	.section	.rodata,"a",@progbits
	.p2align	6, 0x0
	.amdhsa_kernel _ZN2ckL12flush_icacheEv
		.amdhsa_group_segment_fixed_size 0
		.amdhsa_private_segment_fixed_size 0
		.amdhsa_kernarg_size 0
		.amdhsa_user_sgpr_count 0
		.amdhsa_user_sgpr_dispatch_ptr 0
		.amdhsa_user_sgpr_queue_ptr 0
		.amdhsa_user_sgpr_kernarg_segment_ptr 0
		.amdhsa_user_sgpr_dispatch_id 0
		.amdhsa_user_sgpr_private_segment_size 0
		.amdhsa_wavefront_size32 1
		.amdhsa_uses_dynamic_stack 0
		.amdhsa_enable_private_segment 0
		.amdhsa_system_sgpr_workgroup_id_x 1
		.amdhsa_system_sgpr_workgroup_id_y 0
		.amdhsa_system_sgpr_workgroup_id_z 0
		.amdhsa_system_sgpr_workgroup_info 0
		.amdhsa_system_vgpr_workitem_id 0
		.amdhsa_next_free_vgpr 1
		.amdhsa_next_free_sgpr 1
		.amdhsa_reserve_vcc 0
		.amdhsa_float_round_mode_32 0
		.amdhsa_float_round_mode_16_64 0
		.amdhsa_float_denorm_mode_32 3
		.amdhsa_float_denorm_mode_16_64 3
		.amdhsa_fp16_overflow 0
		.amdhsa_workgroup_processor_mode 1
		.amdhsa_memory_ordered 1
		.amdhsa_forward_progress 1
		.amdhsa_inst_pref_size 1
		.amdhsa_round_robin_scheduling 0
		.amdhsa_exception_fp_ieee_invalid_op 0
		.amdhsa_exception_fp_denorm_src 0
		.amdhsa_exception_fp_ieee_div_zero 0
		.amdhsa_exception_fp_ieee_overflow 0
		.amdhsa_exception_fp_ieee_underflow 0
		.amdhsa_exception_fp_ieee_inexact 0
		.amdhsa_exception_int_div_zero 0
	.end_amdhsa_kernel
	.section	.text._ZN2ckL12flush_icacheEv,"axG",@progbits,_ZN2ckL12flush_icacheEv,comdat
.Lfunc_end0:
	.size	_ZN2ckL12flush_icacheEv, .Lfunc_end0-_ZN2ckL12flush_icacheEv
                                        ; -- End function
	.set _ZN2ckL12flush_icacheEv.num_vgpr, 0
	.set _ZN2ckL12flush_icacheEv.num_agpr, 0
	.set _ZN2ckL12flush_icacheEv.numbered_sgpr, 0
	.set _ZN2ckL12flush_icacheEv.num_named_barrier, 0
	.set _ZN2ckL12flush_icacheEv.private_seg_size, 0
	.set _ZN2ckL12flush_icacheEv.uses_vcc, 0
	.set _ZN2ckL12flush_icacheEv.uses_flat_scratch, 0
	.set _ZN2ckL12flush_icacheEv.has_dyn_sized_stack, 0
	.set _ZN2ckL12flush_icacheEv.has_recursion, 0
	.set _ZN2ckL12flush_icacheEv.has_indirect_call, 0
	.section	.AMDGPU.csdata,"",@progbits
; Kernel info:
; codeLenInByte = 4
; TotalNumSgprs: 0
; NumVgprs: 0
; ScratchSize: 0
; MemoryBound: 0
; FloatMode: 240
; IeeeMode: 1
; LDSByteSize: 0 bytes/workgroup (compile time only)
; SGPRBlocks: 0
; VGPRBlocks: 0
; NumSGPRsForWavesPerEU: 1
; NumVGPRsForWavesPerEU: 1
; Occupancy: 16
; WaveLimiterHint : 0
; COMPUTE_PGM_RSRC2:SCRATCH_EN: 0
; COMPUTE_PGM_RSRC2:USER_SGPR: 0
; COMPUTE_PGM_RSRC2:TRAP_HANDLER: 0
; COMPUTE_PGM_RSRC2:TGID_X_EN: 1
; COMPUTE_PGM_RSRC2:TGID_Y_EN: 0
; COMPUTE_PGM_RSRC2:TGID_Z_EN: 0
; COMPUTE_PGM_RSRC2:TIDIG_COMP_CNT: 0
	.section	.text._ZN2ck27kernel_gemm_xdl_cshuffle_v3INS_28GridwiseGemm_xdl_cshuffle_v3INS_13tensor_layout4gemm8RowMajorENS3_11ColumnMajorES4_DF16bNS_7pk_i4_tEfDF16bDF16bNS_16tensor_operation12element_wise11PassThroughES9_S9_LNS7_6device18GemmSpecializationE0ELi128ELi16ELi64ELi128ELi8ELi32ELi16ELi16ELi1ELi2ENS_8SequenceIJLi16ELi8ELi1EEEENSC_IJLi1ELi0ELi2EEEESE_Li2ELi8ELi8ELb0ELi0ENSC_IJLi4ELi32ELi1EEEESE_SE_Li2ELi32ELi32ELb0ELi0ELi1ELi1ENSC_IJLi1ELi16ELi1ELi8EEEELi4ELNS_26BlockGemmPipelineSchedulerE1ELNS_24BlockGemmPipelineVersionE1EDF16bDF16bLb0ELb1ELb0ELi0ELb0EEELb1ELNS_25InMemoryDataOperationEnumE1ELi2ELNS_10TailNumberE2EEEvNT_8ArgumentE,"axG",@progbits,_ZN2ck27kernel_gemm_xdl_cshuffle_v3INS_28GridwiseGemm_xdl_cshuffle_v3INS_13tensor_layout4gemm8RowMajorENS3_11ColumnMajorES4_DF16bNS_7pk_i4_tEfDF16bDF16bNS_16tensor_operation12element_wise11PassThroughES9_S9_LNS7_6device18GemmSpecializationE0ELi128ELi16ELi64ELi128ELi8ELi32ELi16ELi16ELi1ELi2ENS_8SequenceIJLi16ELi8ELi1EEEENSC_IJLi1ELi0ELi2EEEESE_Li2ELi8ELi8ELb0ELi0ENSC_IJLi4ELi32ELi1EEEESE_SE_Li2ELi32ELi32ELb0ELi0ELi1ELi1ENSC_IJLi1ELi16ELi1ELi8EEEELi4ELNS_26BlockGemmPipelineSchedulerE1ELNS_24BlockGemmPipelineVersionE1EDF16bDF16bLb0ELb1ELb0ELi0ELb0EEELb1ELNS_25InMemoryDataOperationEnumE1ELi2ELNS_10TailNumberE2EEEvNT_8ArgumentE,comdat
	.protected	_ZN2ck27kernel_gemm_xdl_cshuffle_v3INS_28GridwiseGemm_xdl_cshuffle_v3INS_13tensor_layout4gemm8RowMajorENS3_11ColumnMajorES4_DF16bNS_7pk_i4_tEfDF16bDF16bNS_16tensor_operation12element_wise11PassThroughES9_S9_LNS7_6device18GemmSpecializationE0ELi128ELi16ELi64ELi128ELi8ELi32ELi16ELi16ELi1ELi2ENS_8SequenceIJLi16ELi8ELi1EEEENSC_IJLi1ELi0ELi2EEEESE_Li2ELi8ELi8ELb0ELi0ENSC_IJLi4ELi32ELi1EEEESE_SE_Li2ELi32ELi32ELb0ELi0ELi1ELi1ENSC_IJLi1ELi16ELi1ELi8EEEELi4ELNS_26BlockGemmPipelineSchedulerE1ELNS_24BlockGemmPipelineVersionE1EDF16bDF16bLb0ELb1ELb0ELi0ELb0EEELb1ELNS_25InMemoryDataOperationEnumE1ELi2ELNS_10TailNumberE2EEEvNT_8ArgumentE ; -- Begin function _ZN2ck27kernel_gemm_xdl_cshuffle_v3INS_28GridwiseGemm_xdl_cshuffle_v3INS_13tensor_layout4gemm8RowMajorENS3_11ColumnMajorES4_DF16bNS_7pk_i4_tEfDF16bDF16bNS_16tensor_operation12element_wise11PassThroughES9_S9_LNS7_6device18GemmSpecializationE0ELi128ELi16ELi64ELi128ELi8ELi32ELi16ELi16ELi1ELi2ENS_8SequenceIJLi16ELi8ELi1EEEENSC_IJLi1ELi0ELi2EEEESE_Li2ELi8ELi8ELb0ELi0ENSC_IJLi4ELi32ELi1EEEESE_SE_Li2ELi32ELi32ELb0ELi0ELi1ELi1ENSC_IJLi1ELi16ELi1ELi8EEEELi4ELNS_26BlockGemmPipelineSchedulerE1ELNS_24BlockGemmPipelineVersionE1EDF16bDF16bLb0ELb1ELb0ELi0ELb0EEELb1ELNS_25InMemoryDataOperationEnumE1ELi2ELNS_10TailNumberE2EEEvNT_8ArgumentE
	.globl	_ZN2ck27kernel_gemm_xdl_cshuffle_v3INS_28GridwiseGemm_xdl_cshuffle_v3INS_13tensor_layout4gemm8RowMajorENS3_11ColumnMajorES4_DF16bNS_7pk_i4_tEfDF16bDF16bNS_16tensor_operation12element_wise11PassThroughES9_S9_LNS7_6device18GemmSpecializationE0ELi128ELi16ELi64ELi128ELi8ELi32ELi16ELi16ELi1ELi2ENS_8SequenceIJLi16ELi8ELi1EEEENSC_IJLi1ELi0ELi2EEEESE_Li2ELi8ELi8ELb0ELi0ENSC_IJLi4ELi32ELi1EEEESE_SE_Li2ELi32ELi32ELb0ELi0ELi1ELi1ENSC_IJLi1ELi16ELi1ELi8EEEELi4ELNS_26BlockGemmPipelineSchedulerE1ELNS_24BlockGemmPipelineVersionE1EDF16bDF16bLb0ELb1ELb0ELi0ELb0EEELb1ELNS_25InMemoryDataOperationEnumE1ELi2ELNS_10TailNumberE2EEEvNT_8ArgumentE
	.p2align	8
	.type	_ZN2ck27kernel_gemm_xdl_cshuffle_v3INS_28GridwiseGemm_xdl_cshuffle_v3INS_13tensor_layout4gemm8RowMajorENS3_11ColumnMajorES4_DF16bNS_7pk_i4_tEfDF16bDF16bNS_16tensor_operation12element_wise11PassThroughES9_S9_LNS7_6device18GemmSpecializationE0ELi128ELi16ELi64ELi128ELi8ELi32ELi16ELi16ELi1ELi2ENS_8SequenceIJLi16ELi8ELi1EEEENSC_IJLi1ELi0ELi2EEEESE_Li2ELi8ELi8ELb0ELi0ENSC_IJLi4ELi32ELi1EEEESE_SE_Li2ELi32ELi32ELb0ELi0ELi1ELi1ENSC_IJLi1ELi16ELi1ELi8EEEELi4ELNS_26BlockGemmPipelineSchedulerE1ELNS_24BlockGemmPipelineVersionE1EDF16bDF16bLb0ELb1ELb0ELi0ELb0EEELb1ELNS_25InMemoryDataOperationEnumE1ELi2ELNS_10TailNumberE2EEEvNT_8ArgumentE,@function
_ZN2ck27kernel_gemm_xdl_cshuffle_v3INS_28GridwiseGemm_xdl_cshuffle_v3INS_13tensor_layout4gemm8RowMajorENS3_11ColumnMajorES4_DF16bNS_7pk_i4_tEfDF16bDF16bNS_16tensor_operation12element_wise11PassThroughES9_S9_LNS7_6device18GemmSpecializationE0ELi128ELi16ELi64ELi128ELi8ELi32ELi16ELi16ELi1ELi2ENS_8SequenceIJLi16ELi8ELi1EEEENSC_IJLi1ELi0ELi2EEEESE_Li2ELi8ELi8ELb0ELi0ENSC_IJLi4ELi32ELi1EEEESE_SE_Li2ELi32ELi32ELb0ELi0ELi1ELi1ENSC_IJLi1ELi16ELi1ELi8EEEELi4ELNS_26BlockGemmPipelineSchedulerE1ELNS_24BlockGemmPipelineVersionE1EDF16bDF16bLb0ELb1ELb0ELi0ELb0EEELb1ELNS_25InMemoryDataOperationEnumE1ELi2ELNS_10TailNumberE2EEEvNT_8ArgumentE: ; @_ZN2ck27kernel_gemm_xdl_cshuffle_v3INS_28GridwiseGemm_xdl_cshuffle_v3INS_13tensor_layout4gemm8RowMajorENS3_11ColumnMajorES4_DF16bNS_7pk_i4_tEfDF16bDF16bNS_16tensor_operation12element_wise11PassThroughES9_S9_LNS7_6device18GemmSpecializationE0ELi128ELi16ELi64ELi128ELi8ELi32ELi16ELi16ELi1ELi2ENS_8SequenceIJLi16ELi8ELi1EEEENSC_IJLi1ELi0ELi2EEEESE_Li2ELi8ELi8ELb0ELi0ENSC_IJLi4ELi32ELi1EEEESE_SE_Li2ELi32ELi32ELb0ELi0ELi1ELi1ENSC_IJLi1ELi16ELi1ELi8EEEELi4ELNS_26BlockGemmPipelineSchedulerE1ELNS_24BlockGemmPipelineVersionE1EDF16bDF16bLb0ELb1ELb0ELi0ELb0EEELb1ELNS_25InMemoryDataOperationEnumE1ELi2ELNS_10TailNumberE2EEEvNT_8ArgumentE
; %bb.0:
	s_endpgm
	.section	.rodata,"a",@progbits
	.p2align	6, 0x0
	.amdhsa_kernel _ZN2ck27kernel_gemm_xdl_cshuffle_v3INS_28GridwiseGemm_xdl_cshuffle_v3INS_13tensor_layout4gemm8RowMajorENS3_11ColumnMajorES4_DF16bNS_7pk_i4_tEfDF16bDF16bNS_16tensor_operation12element_wise11PassThroughES9_S9_LNS7_6device18GemmSpecializationE0ELi128ELi16ELi64ELi128ELi8ELi32ELi16ELi16ELi1ELi2ENS_8SequenceIJLi16ELi8ELi1EEEENSC_IJLi1ELi0ELi2EEEESE_Li2ELi8ELi8ELb0ELi0ENSC_IJLi4ELi32ELi1EEEESE_SE_Li2ELi32ELi32ELb0ELi0ELi1ELi1ENSC_IJLi1ELi16ELi1ELi8EEEELi4ELNS_26BlockGemmPipelineSchedulerE1ELNS_24BlockGemmPipelineVersionE1EDF16bDF16bLb0ELb1ELb0ELi0ELb0EEELb1ELNS_25InMemoryDataOperationEnumE1ELi2ELNS_10TailNumberE2EEEvNT_8ArgumentE
		.amdhsa_group_segment_fixed_size 0
		.amdhsa_private_segment_fixed_size 0
		.amdhsa_kernarg_size 112
		.amdhsa_user_sgpr_count 2
		.amdhsa_user_sgpr_dispatch_ptr 0
		.amdhsa_user_sgpr_queue_ptr 0
		.amdhsa_user_sgpr_kernarg_segment_ptr 1
		.amdhsa_user_sgpr_dispatch_id 0
		.amdhsa_user_sgpr_private_segment_size 0
		.amdhsa_wavefront_size32 1
		.amdhsa_uses_dynamic_stack 0
		.amdhsa_enable_private_segment 0
		.amdhsa_system_sgpr_workgroup_id_x 1
		.amdhsa_system_sgpr_workgroup_id_y 0
		.amdhsa_system_sgpr_workgroup_id_z 0
		.amdhsa_system_sgpr_workgroup_info 0
		.amdhsa_system_vgpr_workitem_id 0
		.amdhsa_next_free_vgpr 1
		.amdhsa_next_free_sgpr 1
		.amdhsa_reserve_vcc 0
		.amdhsa_float_round_mode_32 0
		.amdhsa_float_round_mode_16_64 0
		.amdhsa_float_denorm_mode_32 3
		.amdhsa_float_denorm_mode_16_64 3
		.amdhsa_fp16_overflow 0
		.amdhsa_workgroup_processor_mode 1
		.amdhsa_memory_ordered 1
		.amdhsa_forward_progress 1
		.amdhsa_inst_pref_size 1
		.amdhsa_round_robin_scheduling 0
		.amdhsa_exception_fp_ieee_invalid_op 0
		.amdhsa_exception_fp_denorm_src 0
		.amdhsa_exception_fp_ieee_div_zero 0
		.amdhsa_exception_fp_ieee_overflow 0
		.amdhsa_exception_fp_ieee_underflow 0
		.amdhsa_exception_fp_ieee_inexact 0
		.amdhsa_exception_int_div_zero 0
	.end_amdhsa_kernel
	.section	.text._ZN2ck27kernel_gemm_xdl_cshuffle_v3INS_28GridwiseGemm_xdl_cshuffle_v3INS_13tensor_layout4gemm8RowMajorENS3_11ColumnMajorES4_DF16bNS_7pk_i4_tEfDF16bDF16bNS_16tensor_operation12element_wise11PassThroughES9_S9_LNS7_6device18GemmSpecializationE0ELi128ELi16ELi64ELi128ELi8ELi32ELi16ELi16ELi1ELi2ENS_8SequenceIJLi16ELi8ELi1EEEENSC_IJLi1ELi0ELi2EEEESE_Li2ELi8ELi8ELb0ELi0ENSC_IJLi4ELi32ELi1EEEESE_SE_Li2ELi32ELi32ELb0ELi0ELi1ELi1ENSC_IJLi1ELi16ELi1ELi8EEEELi4ELNS_26BlockGemmPipelineSchedulerE1ELNS_24BlockGemmPipelineVersionE1EDF16bDF16bLb0ELb1ELb0ELi0ELb0EEELb1ELNS_25InMemoryDataOperationEnumE1ELi2ELNS_10TailNumberE2EEEvNT_8ArgumentE,"axG",@progbits,_ZN2ck27kernel_gemm_xdl_cshuffle_v3INS_28GridwiseGemm_xdl_cshuffle_v3INS_13tensor_layout4gemm8RowMajorENS3_11ColumnMajorES4_DF16bNS_7pk_i4_tEfDF16bDF16bNS_16tensor_operation12element_wise11PassThroughES9_S9_LNS7_6device18GemmSpecializationE0ELi128ELi16ELi64ELi128ELi8ELi32ELi16ELi16ELi1ELi2ENS_8SequenceIJLi16ELi8ELi1EEEENSC_IJLi1ELi0ELi2EEEESE_Li2ELi8ELi8ELb0ELi0ENSC_IJLi4ELi32ELi1EEEESE_SE_Li2ELi32ELi32ELb0ELi0ELi1ELi1ENSC_IJLi1ELi16ELi1ELi8EEEELi4ELNS_26BlockGemmPipelineSchedulerE1ELNS_24BlockGemmPipelineVersionE1EDF16bDF16bLb0ELb1ELb0ELi0ELb0EEELb1ELNS_25InMemoryDataOperationEnumE1ELi2ELNS_10TailNumberE2EEEvNT_8ArgumentE,comdat
.Lfunc_end1:
	.size	_ZN2ck27kernel_gemm_xdl_cshuffle_v3INS_28GridwiseGemm_xdl_cshuffle_v3INS_13tensor_layout4gemm8RowMajorENS3_11ColumnMajorES4_DF16bNS_7pk_i4_tEfDF16bDF16bNS_16tensor_operation12element_wise11PassThroughES9_S9_LNS7_6device18GemmSpecializationE0ELi128ELi16ELi64ELi128ELi8ELi32ELi16ELi16ELi1ELi2ENS_8SequenceIJLi16ELi8ELi1EEEENSC_IJLi1ELi0ELi2EEEESE_Li2ELi8ELi8ELb0ELi0ENSC_IJLi4ELi32ELi1EEEESE_SE_Li2ELi32ELi32ELb0ELi0ELi1ELi1ENSC_IJLi1ELi16ELi1ELi8EEEELi4ELNS_26BlockGemmPipelineSchedulerE1ELNS_24BlockGemmPipelineVersionE1EDF16bDF16bLb0ELb1ELb0ELi0ELb0EEELb1ELNS_25InMemoryDataOperationEnumE1ELi2ELNS_10TailNumberE2EEEvNT_8ArgumentE, .Lfunc_end1-_ZN2ck27kernel_gemm_xdl_cshuffle_v3INS_28GridwiseGemm_xdl_cshuffle_v3INS_13tensor_layout4gemm8RowMajorENS3_11ColumnMajorES4_DF16bNS_7pk_i4_tEfDF16bDF16bNS_16tensor_operation12element_wise11PassThroughES9_S9_LNS7_6device18GemmSpecializationE0ELi128ELi16ELi64ELi128ELi8ELi32ELi16ELi16ELi1ELi2ENS_8SequenceIJLi16ELi8ELi1EEEENSC_IJLi1ELi0ELi2EEEESE_Li2ELi8ELi8ELb0ELi0ENSC_IJLi4ELi32ELi1EEEESE_SE_Li2ELi32ELi32ELb0ELi0ELi1ELi1ENSC_IJLi1ELi16ELi1ELi8EEEELi4ELNS_26BlockGemmPipelineSchedulerE1ELNS_24BlockGemmPipelineVersionE1EDF16bDF16bLb0ELb1ELb0ELi0ELb0EEELb1ELNS_25InMemoryDataOperationEnumE1ELi2ELNS_10TailNumberE2EEEvNT_8ArgumentE
                                        ; -- End function
	.set _ZN2ck27kernel_gemm_xdl_cshuffle_v3INS_28GridwiseGemm_xdl_cshuffle_v3INS_13tensor_layout4gemm8RowMajorENS3_11ColumnMajorES4_DF16bNS_7pk_i4_tEfDF16bDF16bNS_16tensor_operation12element_wise11PassThroughES9_S9_LNS7_6device18GemmSpecializationE0ELi128ELi16ELi64ELi128ELi8ELi32ELi16ELi16ELi1ELi2ENS_8SequenceIJLi16ELi8ELi1EEEENSC_IJLi1ELi0ELi2EEEESE_Li2ELi8ELi8ELb0ELi0ENSC_IJLi4ELi32ELi1EEEESE_SE_Li2ELi32ELi32ELb0ELi0ELi1ELi1ENSC_IJLi1ELi16ELi1ELi8EEEELi4ELNS_26BlockGemmPipelineSchedulerE1ELNS_24BlockGemmPipelineVersionE1EDF16bDF16bLb0ELb1ELb0ELi0ELb0EEELb1ELNS_25InMemoryDataOperationEnumE1ELi2ELNS_10TailNumberE2EEEvNT_8ArgumentE.num_vgpr, 0
	.set _ZN2ck27kernel_gemm_xdl_cshuffle_v3INS_28GridwiseGemm_xdl_cshuffle_v3INS_13tensor_layout4gemm8RowMajorENS3_11ColumnMajorES4_DF16bNS_7pk_i4_tEfDF16bDF16bNS_16tensor_operation12element_wise11PassThroughES9_S9_LNS7_6device18GemmSpecializationE0ELi128ELi16ELi64ELi128ELi8ELi32ELi16ELi16ELi1ELi2ENS_8SequenceIJLi16ELi8ELi1EEEENSC_IJLi1ELi0ELi2EEEESE_Li2ELi8ELi8ELb0ELi0ENSC_IJLi4ELi32ELi1EEEESE_SE_Li2ELi32ELi32ELb0ELi0ELi1ELi1ENSC_IJLi1ELi16ELi1ELi8EEEELi4ELNS_26BlockGemmPipelineSchedulerE1ELNS_24BlockGemmPipelineVersionE1EDF16bDF16bLb0ELb1ELb0ELi0ELb0EEELb1ELNS_25InMemoryDataOperationEnumE1ELi2ELNS_10TailNumberE2EEEvNT_8ArgumentE.num_agpr, 0
	.set _ZN2ck27kernel_gemm_xdl_cshuffle_v3INS_28GridwiseGemm_xdl_cshuffle_v3INS_13tensor_layout4gemm8RowMajorENS3_11ColumnMajorES4_DF16bNS_7pk_i4_tEfDF16bDF16bNS_16tensor_operation12element_wise11PassThroughES9_S9_LNS7_6device18GemmSpecializationE0ELi128ELi16ELi64ELi128ELi8ELi32ELi16ELi16ELi1ELi2ENS_8SequenceIJLi16ELi8ELi1EEEENSC_IJLi1ELi0ELi2EEEESE_Li2ELi8ELi8ELb0ELi0ENSC_IJLi4ELi32ELi1EEEESE_SE_Li2ELi32ELi32ELb0ELi0ELi1ELi1ENSC_IJLi1ELi16ELi1ELi8EEEELi4ELNS_26BlockGemmPipelineSchedulerE1ELNS_24BlockGemmPipelineVersionE1EDF16bDF16bLb0ELb1ELb0ELi0ELb0EEELb1ELNS_25InMemoryDataOperationEnumE1ELi2ELNS_10TailNumberE2EEEvNT_8ArgumentE.numbered_sgpr, 0
	.set _ZN2ck27kernel_gemm_xdl_cshuffle_v3INS_28GridwiseGemm_xdl_cshuffle_v3INS_13tensor_layout4gemm8RowMajorENS3_11ColumnMajorES4_DF16bNS_7pk_i4_tEfDF16bDF16bNS_16tensor_operation12element_wise11PassThroughES9_S9_LNS7_6device18GemmSpecializationE0ELi128ELi16ELi64ELi128ELi8ELi32ELi16ELi16ELi1ELi2ENS_8SequenceIJLi16ELi8ELi1EEEENSC_IJLi1ELi0ELi2EEEESE_Li2ELi8ELi8ELb0ELi0ENSC_IJLi4ELi32ELi1EEEESE_SE_Li2ELi32ELi32ELb0ELi0ELi1ELi1ENSC_IJLi1ELi16ELi1ELi8EEEELi4ELNS_26BlockGemmPipelineSchedulerE1ELNS_24BlockGemmPipelineVersionE1EDF16bDF16bLb0ELb1ELb0ELi0ELb0EEELb1ELNS_25InMemoryDataOperationEnumE1ELi2ELNS_10TailNumberE2EEEvNT_8ArgumentE.num_named_barrier, 0
	.set _ZN2ck27kernel_gemm_xdl_cshuffle_v3INS_28GridwiseGemm_xdl_cshuffle_v3INS_13tensor_layout4gemm8RowMajorENS3_11ColumnMajorES4_DF16bNS_7pk_i4_tEfDF16bDF16bNS_16tensor_operation12element_wise11PassThroughES9_S9_LNS7_6device18GemmSpecializationE0ELi128ELi16ELi64ELi128ELi8ELi32ELi16ELi16ELi1ELi2ENS_8SequenceIJLi16ELi8ELi1EEEENSC_IJLi1ELi0ELi2EEEESE_Li2ELi8ELi8ELb0ELi0ENSC_IJLi4ELi32ELi1EEEESE_SE_Li2ELi32ELi32ELb0ELi0ELi1ELi1ENSC_IJLi1ELi16ELi1ELi8EEEELi4ELNS_26BlockGemmPipelineSchedulerE1ELNS_24BlockGemmPipelineVersionE1EDF16bDF16bLb0ELb1ELb0ELi0ELb0EEELb1ELNS_25InMemoryDataOperationEnumE1ELi2ELNS_10TailNumberE2EEEvNT_8ArgumentE.private_seg_size, 0
	.set _ZN2ck27kernel_gemm_xdl_cshuffle_v3INS_28GridwiseGemm_xdl_cshuffle_v3INS_13tensor_layout4gemm8RowMajorENS3_11ColumnMajorES4_DF16bNS_7pk_i4_tEfDF16bDF16bNS_16tensor_operation12element_wise11PassThroughES9_S9_LNS7_6device18GemmSpecializationE0ELi128ELi16ELi64ELi128ELi8ELi32ELi16ELi16ELi1ELi2ENS_8SequenceIJLi16ELi8ELi1EEEENSC_IJLi1ELi0ELi2EEEESE_Li2ELi8ELi8ELb0ELi0ENSC_IJLi4ELi32ELi1EEEESE_SE_Li2ELi32ELi32ELb0ELi0ELi1ELi1ENSC_IJLi1ELi16ELi1ELi8EEEELi4ELNS_26BlockGemmPipelineSchedulerE1ELNS_24BlockGemmPipelineVersionE1EDF16bDF16bLb0ELb1ELb0ELi0ELb0EEELb1ELNS_25InMemoryDataOperationEnumE1ELi2ELNS_10TailNumberE2EEEvNT_8ArgumentE.uses_vcc, 0
	.set _ZN2ck27kernel_gemm_xdl_cshuffle_v3INS_28GridwiseGemm_xdl_cshuffle_v3INS_13tensor_layout4gemm8RowMajorENS3_11ColumnMajorES4_DF16bNS_7pk_i4_tEfDF16bDF16bNS_16tensor_operation12element_wise11PassThroughES9_S9_LNS7_6device18GemmSpecializationE0ELi128ELi16ELi64ELi128ELi8ELi32ELi16ELi16ELi1ELi2ENS_8SequenceIJLi16ELi8ELi1EEEENSC_IJLi1ELi0ELi2EEEESE_Li2ELi8ELi8ELb0ELi0ENSC_IJLi4ELi32ELi1EEEESE_SE_Li2ELi32ELi32ELb0ELi0ELi1ELi1ENSC_IJLi1ELi16ELi1ELi8EEEELi4ELNS_26BlockGemmPipelineSchedulerE1ELNS_24BlockGemmPipelineVersionE1EDF16bDF16bLb0ELb1ELb0ELi0ELb0EEELb1ELNS_25InMemoryDataOperationEnumE1ELi2ELNS_10TailNumberE2EEEvNT_8ArgumentE.uses_flat_scratch, 0
	.set _ZN2ck27kernel_gemm_xdl_cshuffle_v3INS_28GridwiseGemm_xdl_cshuffle_v3INS_13tensor_layout4gemm8RowMajorENS3_11ColumnMajorES4_DF16bNS_7pk_i4_tEfDF16bDF16bNS_16tensor_operation12element_wise11PassThroughES9_S9_LNS7_6device18GemmSpecializationE0ELi128ELi16ELi64ELi128ELi8ELi32ELi16ELi16ELi1ELi2ENS_8SequenceIJLi16ELi8ELi1EEEENSC_IJLi1ELi0ELi2EEEESE_Li2ELi8ELi8ELb0ELi0ENSC_IJLi4ELi32ELi1EEEESE_SE_Li2ELi32ELi32ELb0ELi0ELi1ELi1ENSC_IJLi1ELi16ELi1ELi8EEEELi4ELNS_26BlockGemmPipelineSchedulerE1ELNS_24BlockGemmPipelineVersionE1EDF16bDF16bLb0ELb1ELb0ELi0ELb0EEELb1ELNS_25InMemoryDataOperationEnumE1ELi2ELNS_10TailNumberE2EEEvNT_8ArgumentE.has_dyn_sized_stack, 0
	.set _ZN2ck27kernel_gemm_xdl_cshuffle_v3INS_28GridwiseGemm_xdl_cshuffle_v3INS_13tensor_layout4gemm8RowMajorENS3_11ColumnMajorES4_DF16bNS_7pk_i4_tEfDF16bDF16bNS_16tensor_operation12element_wise11PassThroughES9_S9_LNS7_6device18GemmSpecializationE0ELi128ELi16ELi64ELi128ELi8ELi32ELi16ELi16ELi1ELi2ENS_8SequenceIJLi16ELi8ELi1EEEENSC_IJLi1ELi0ELi2EEEESE_Li2ELi8ELi8ELb0ELi0ENSC_IJLi4ELi32ELi1EEEESE_SE_Li2ELi32ELi32ELb0ELi0ELi1ELi1ENSC_IJLi1ELi16ELi1ELi8EEEELi4ELNS_26BlockGemmPipelineSchedulerE1ELNS_24BlockGemmPipelineVersionE1EDF16bDF16bLb0ELb1ELb0ELi0ELb0EEELb1ELNS_25InMemoryDataOperationEnumE1ELi2ELNS_10TailNumberE2EEEvNT_8ArgumentE.has_recursion, 0
	.set _ZN2ck27kernel_gemm_xdl_cshuffle_v3INS_28GridwiseGemm_xdl_cshuffle_v3INS_13tensor_layout4gemm8RowMajorENS3_11ColumnMajorES4_DF16bNS_7pk_i4_tEfDF16bDF16bNS_16tensor_operation12element_wise11PassThroughES9_S9_LNS7_6device18GemmSpecializationE0ELi128ELi16ELi64ELi128ELi8ELi32ELi16ELi16ELi1ELi2ENS_8SequenceIJLi16ELi8ELi1EEEENSC_IJLi1ELi0ELi2EEEESE_Li2ELi8ELi8ELb0ELi0ENSC_IJLi4ELi32ELi1EEEESE_SE_Li2ELi32ELi32ELb0ELi0ELi1ELi1ENSC_IJLi1ELi16ELi1ELi8EEEELi4ELNS_26BlockGemmPipelineSchedulerE1ELNS_24BlockGemmPipelineVersionE1EDF16bDF16bLb0ELb1ELb0ELi0ELb0EEELb1ELNS_25InMemoryDataOperationEnumE1ELi2ELNS_10TailNumberE2EEEvNT_8ArgumentE.has_indirect_call, 0
	.section	.AMDGPU.csdata,"",@progbits
; Kernel info:
; codeLenInByte = 4
; TotalNumSgprs: 0
; NumVgprs: 0
; ScratchSize: 0
; MemoryBound: 0
; FloatMode: 240
; IeeeMode: 1
; LDSByteSize: 0 bytes/workgroup (compile time only)
; SGPRBlocks: 0
; VGPRBlocks: 0
; NumSGPRsForWavesPerEU: 1
; NumVGPRsForWavesPerEU: 1
; Occupancy: 16
; WaveLimiterHint : 0
; COMPUTE_PGM_RSRC2:SCRATCH_EN: 0
; COMPUTE_PGM_RSRC2:USER_SGPR: 2
; COMPUTE_PGM_RSRC2:TRAP_HANDLER: 0
; COMPUTE_PGM_RSRC2:TGID_X_EN: 1
; COMPUTE_PGM_RSRC2:TGID_Y_EN: 0
; COMPUTE_PGM_RSRC2:TGID_Z_EN: 0
; COMPUTE_PGM_RSRC2:TIDIG_COMP_CNT: 0
	.section	.text._ZN2ck27kernel_gemm_xdl_cshuffle_v3INS_28GridwiseGemm_xdl_cshuffle_v3INS_13tensor_layout4gemm8RowMajorENS3_11ColumnMajorES4_DF16bNS_7pk_i4_tEfDF16bDF16bNS_16tensor_operation12element_wise11PassThroughES9_S9_LNS7_6device18GemmSpecializationE0ELi128ELi16ELi64ELi128ELi8ELi32ELi16ELi16ELi1ELi2ENS_8SequenceIJLi16ELi8ELi1EEEENSC_IJLi1ELi0ELi2EEEESE_Li2ELi8ELi8ELb0ELi0ENSC_IJLi4ELi32ELi1EEEESE_SE_Li2ELi32ELi32ELb0ELi0ELi1ELi1ENSC_IJLi1ELi16ELi1ELi8EEEELi4ELNS_26BlockGemmPipelineSchedulerE1ELNS_24BlockGemmPipelineVersionE1EDF16bDF16bLb0ELb1ELb0ELi0ELb0EEELb1ELNS_25InMemoryDataOperationEnumE1ELi2ELNS_10TailNumberE10EEEvNT_8ArgumentE,"axG",@progbits,_ZN2ck27kernel_gemm_xdl_cshuffle_v3INS_28GridwiseGemm_xdl_cshuffle_v3INS_13tensor_layout4gemm8RowMajorENS3_11ColumnMajorES4_DF16bNS_7pk_i4_tEfDF16bDF16bNS_16tensor_operation12element_wise11PassThroughES9_S9_LNS7_6device18GemmSpecializationE0ELi128ELi16ELi64ELi128ELi8ELi32ELi16ELi16ELi1ELi2ENS_8SequenceIJLi16ELi8ELi1EEEENSC_IJLi1ELi0ELi2EEEESE_Li2ELi8ELi8ELb0ELi0ENSC_IJLi4ELi32ELi1EEEESE_SE_Li2ELi32ELi32ELb0ELi0ELi1ELi1ENSC_IJLi1ELi16ELi1ELi8EEEELi4ELNS_26BlockGemmPipelineSchedulerE1ELNS_24BlockGemmPipelineVersionE1EDF16bDF16bLb0ELb1ELb0ELi0ELb0EEELb1ELNS_25InMemoryDataOperationEnumE1ELi2ELNS_10TailNumberE10EEEvNT_8ArgumentE,comdat
	.protected	_ZN2ck27kernel_gemm_xdl_cshuffle_v3INS_28GridwiseGemm_xdl_cshuffle_v3INS_13tensor_layout4gemm8RowMajorENS3_11ColumnMajorES4_DF16bNS_7pk_i4_tEfDF16bDF16bNS_16tensor_operation12element_wise11PassThroughES9_S9_LNS7_6device18GemmSpecializationE0ELi128ELi16ELi64ELi128ELi8ELi32ELi16ELi16ELi1ELi2ENS_8SequenceIJLi16ELi8ELi1EEEENSC_IJLi1ELi0ELi2EEEESE_Li2ELi8ELi8ELb0ELi0ENSC_IJLi4ELi32ELi1EEEESE_SE_Li2ELi32ELi32ELb0ELi0ELi1ELi1ENSC_IJLi1ELi16ELi1ELi8EEEELi4ELNS_26BlockGemmPipelineSchedulerE1ELNS_24BlockGemmPipelineVersionE1EDF16bDF16bLb0ELb1ELb0ELi0ELb0EEELb1ELNS_25InMemoryDataOperationEnumE1ELi2ELNS_10TailNumberE10EEEvNT_8ArgumentE ; -- Begin function _ZN2ck27kernel_gemm_xdl_cshuffle_v3INS_28GridwiseGemm_xdl_cshuffle_v3INS_13tensor_layout4gemm8RowMajorENS3_11ColumnMajorES4_DF16bNS_7pk_i4_tEfDF16bDF16bNS_16tensor_operation12element_wise11PassThroughES9_S9_LNS7_6device18GemmSpecializationE0ELi128ELi16ELi64ELi128ELi8ELi32ELi16ELi16ELi1ELi2ENS_8SequenceIJLi16ELi8ELi1EEEENSC_IJLi1ELi0ELi2EEEESE_Li2ELi8ELi8ELb0ELi0ENSC_IJLi4ELi32ELi1EEEESE_SE_Li2ELi32ELi32ELb0ELi0ELi1ELi1ENSC_IJLi1ELi16ELi1ELi8EEEELi4ELNS_26BlockGemmPipelineSchedulerE1ELNS_24BlockGemmPipelineVersionE1EDF16bDF16bLb0ELb1ELb0ELi0ELb0EEELb1ELNS_25InMemoryDataOperationEnumE1ELi2ELNS_10TailNumberE10EEEvNT_8ArgumentE
	.globl	_ZN2ck27kernel_gemm_xdl_cshuffle_v3INS_28GridwiseGemm_xdl_cshuffle_v3INS_13tensor_layout4gemm8RowMajorENS3_11ColumnMajorES4_DF16bNS_7pk_i4_tEfDF16bDF16bNS_16tensor_operation12element_wise11PassThroughES9_S9_LNS7_6device18GemmSpecializationE0ELi128ELi16ELi64ELi128ELi8ELi32ELi16ELi16ELi1ELi2ENS_8SequenceIJLi16ELi8ELi1EEEENSC_IJLi1ELi0ELi2EEEESE_Li2ELi8ELi8ELb0ELi0ENSC_IJLi4ELi32ELi1EEEESE_SE_Li2ELi32ELi32ELb0ELi0ELi1ELi1ENSC_IJLi1ELi16ELi1ELi8EEEELi4ELNS_26BlockGemmPipelineSchedulerE1ELNS_24BlockGemmPipelineVersionE1EDF16bDF16bLb0ELb1ELb0ELi0ELb0EEELb1ELNS_25InMemoryDataOperationEnumE1ELi2ELNS_10TailNumberE10EEEvNT_8ArgumentE
	.p2align	8
	.type	_ZN2ck27kernel_gemm_xdl_cshuffle_v3INS_28GridwiseGemm_xdl_cshuffle_v3INS_13tensor_layout4gemm8RowMajorENS3_11ColumnMajorES4_DF16bNS_7pk_i4_tEfDF16bDF16bNS_16tensor_operation12element_wise11PassThroughES9_S9_LNS7_6device18GemmSpecializationE0ELi128ELi16ELi64ELi128ELi8ELi32ELi16ELi16ELi1ELi2ENS_8SequenceIJLi16ELi8ELi1EEEENSC_IJLi1ELi0ELi2EEEESE_Li2ELi8ELi8ELb0ELi0ENSC_IJLi4ELi32ELi1EEEESE_SE_Li2ELi32ELi32ELb0ELi0ELi1ELi1ENSC_IJLi1ELi16ELi1ELi8EEEELi4ELNS_26BlockGemmPipelineSchedulerE1ELNS_24BlockGemmPipelineVersionE1EDF16bDF16bLb0ELb1ELb0ELi0ELb0EEELb1ELNS_25InMemoryDataOperationEnumE1ELi2ELNS_10TailNumberE10EEEvNT_8ArgumentE,@function
_ZN2ck27kernel_gemm_xdl_cshuffle_v3INS_28GridwiseGemm_xdl_cshuffle_v3INS_13tensor_layout4gemm8RowMajorENS3_11ColumnMajorES4_DF16bNS_7pk_i4_tEfDF16bDF16bNS_16tensor_operation12element_wise11PassThroughES9_S9_LNS7_6device18GemmSpecializationE0ELi128ELi16ELi64ELi128ELi8ELi32ELi16ELi16ELi1ELi2ENS_8SequenceIJLi16ELi8ELi1EEEENSC_IJLi1ELi0ELi2EEEESE_Li2ELi8ELi8ELb0ELi0ENSC_IJLi4ELi32ELi1EEEESE_SE_Li2ELi32ELi32ELb0ELi0ELi1ELi1ENSC_IJLi1ELi16ELi1ELi8EEEELi4ELNS_26BlockGemmPipelineSchedulerE1ELNS_24BlockGemmPipelineVersionE1EDF16bDF16bLb0ELb1ELb0ELi0ELb0EEELb1ELNS_25InMemoryDataOperationEnumE1ELi2ELNS_10TailNumberE10EEEvNT_8ArgumentE: ; @_ZN2ck27kernel_gemm_xdl_cshuffle_v3INS_28GridwiseGemm_xdl_cshuffle_v3INS_13tensor_layout4gemm8RowMajorENS3_11ColumnMajorES4_DF16bNS_7pk_i4_tEfDF16bDF16bNS_16tensor_operation12element_wise11PassThroughES9_S9_LNS7_6device18GemmSpecializationE0ELi128ELi16ELi64ELi128ELi8ELi32ELi16ELi16ELi1ELi2ENS_8SequenceIJLi16ELi8ELi1EEEENSC_IJLi1ELi0ELi2EEEESE_Li2ELi8ELi8ELb0ELi0ENSC_IJLi4ELi32ELi1EEEESE_SE_Li2ELi32ELi32ELb0ELi0ELi1ELi1ENSC_IJLi1ELi16ELi1ELi8EEEELi4ELNS_26BlockGemmPipelineSchedulerE1ELNS_24BlockGemmPipelineVersionE1EDF16bDF16bLb0ELb1ELb0ELi0ELb0EEELb1ELNS_25InMemoryDataOperationEnumE1ELi2ELNS_10TailNumberE10EEEvNT_8ArgumentE
; %bb.0:
	s_endpgm
	.section	.rodata,"a",@progbits
	.p2align	6, 0x0
	.amdhsa_kernel _ZN2ck27kernel_gemm_xdl_cshuffle_v3INS_28GridwiseGemm_xdl_cshuffle_v3INS_13tensor_layout4gemm8RowMajorENS3_11ColumnMajorES4_DF16bNS_7pk_i4_tEfDF16bDF16bNS_16tensor_operation12element_wise11PassThroughES9_S9_LNS7_6device18GemmSpecializationE0ELi128ELi16ELi64ELi128ELi8ELi32ELi16ELi16ELi1ELi2ENS_8SequenceIJLi16ELi8ELi1EEEENSC_IJLi1ELi0ELi2EEEESE_Li2ELi8ELi8ELb0ELi0ENSC_IJLi4ELi32ELi1EEEESE_SE_Li2ELi32ELi32ELb0ELi0ELi1ELi1ENSC_IJLi1ELi16ELi1ELi8EEEELi4ELNS_26BlockGemmPipelineSchedulerE1ELNS_24BlockGemmPipelineVersionE1EDF16bDF16bLb0ELb1ELb0ELi0ELb0EEELb1ELNS_25InMemoryDataOperationEnumE1ELi2ELNS_10TailNumberE10EEEvNT_8ArgumentE
		.amdhsa_group_segment_fixed_size 0
		.amdhsa_private_segment_fixed_size 0
		.amdhsa_kernarg_size 112
		.amdhsa_user_sgpr_count 2
		.amdhsa_user_sgpr_dispatch_ptr 0
		.amdhsa_user_sgpr_queue_ptr 0
		.amdhsa_user_sgpr_kernarg_segment_ptr 1
		.amdhsa_user_sgpr_dispatch_id 0
		.amdhsa_user_sgpr_private_segment_size 0
		.amdhsa_wavefront_size32 1
		.amdhsa_uses_dynamic_stack 0
		.amdhsa_enable_private_segment 0
		.amdhsa_system_sgpr_workgroup_id_x 1
		.amdhsa_system_sgpr_workgroup_id_y 0
		.amdhsa_system_sgpr_workgroup_id_z 0
		.amdhsa_system_sgpr_workgroup_info 0
		.amdhsa_system_vgpr_workitem_id 0
		.amdhsa_next_free_vgpr 1
		.amdhsa_next_free_sgpr 1
		.amdhsa_reserve_vcc 0
		.amdhsa_float_round_mode_32 0
		.amdhsa_float_round_mode_16_64 0
		.amdhsa_float_denorm_mode_32 3
		.amdhsa_float_denorm_mode_16_64 3
		.amdhsa_fp16_overflow 0
		.amdhsa_workgroup_processor_mode 1
		.amdhsa_memory_ordered 1
		.amdhsa_forward_progress 1
		.amdhsa_inst_pref_size 1
		.amdhsa_round_robin_scheduling 0
		.amdhsa_exception_fp_ieee_invalid_op 0
		.amdhsa_exception_fp_denorm_src 0
		.amdhsa_exception_fp_ieee_div_zero 0
		.amdhsa_exception_fp_ieee_overflow 0
		.amdhsa_exception_fp_ieee_underflow 0
		.amdhsa_exception_fp_ieee_inexact 0
		.amdhsa_exception_int_div_zero 0
	.end_amdhsa_kernel
	.section	.text._ZN2ck27kernel_gemm_xdl_cshuffle_v3INS_28GridwiseGemm_xdl_cshuffle_v3INS_13tensor_layout4gemm8RowMajorENS3_11ColumnMajorES4_DF16bNS_7pk_i4_tEfDF16bDF16bNS_16tensor_operation12element_wise11PassThroughES9_S9_LNS7_6device18GemmSpecializationE0ELi128ELi16ELi64ELi128ELi8ELi32ELi16ELi16ELi1ELi2ENS_8SequenceIJLi16ELi8ELi1EEEENSC_IJLi1ELi0ELi2EEEESE_Li2ELi8ELi8ELb0ELi0ENSC_IJLi4ELi32ELi1EEEESE_SE_Li2ELi32ELi32ELb0ELi0ELi1ELi1ENSC_IJLi1ELi16ELi1ELi8EEEELi4ELNS_26BlockGemmPipelineSchedulerE1ELNS_24BlockGemmPipelineVersionE1EDF16bDF16bLb0ELb1ELb0ELi0ELb0EEELb1ELNS_25InMemoryDataOperationEnumE1ELi2ELNS_10TailNumberE10EEEvNT_8ArgumentE,"axG",@progbits,_ZN2ck27kernel_gemm_xdl_cshuffle_v3INS_28GridwiseGemm_xdl_cshuffle_v3INS_13tensor_layout4gemm8RowMajorENS3_11ColumnMajorES4_DF16bNS_7pk_i4_tEfDF16bDF16bNS_16tensor_operation12element_wise11PassThroughES9_S9_LNS7_6device18GemmSpecializationE0ELi128ELi16ELi64ELi128ELi8ELi32ELi16ELi16ELi1ELi2ENS_8SequenceIJLi16ELi8ELi1EEEENSC_IJLi1ELi0ELi2EEEESE_Li2ELi8ELi8ELb0ELi0ENSC_IJLi4ELi32ELi1EEEESE_SE_Li2ELi32ELi32ELb0ELi0ELi1ELi1ENSC_IJLi1ELi16ELi1ELi8EEEELi4ELNS_26BlockGemmPipelineSchedulerE1ELNS_24BlockGemmPipelineVersionE1EDF16bDF16bLb0ELb1ELb0ELi0ELb0EEELb1ELNS_25InMemoryDataOperationEnumE1ELi2ELNS_10TailNumberE10EEEvNT_8ArgumentE,comdat
.Lfunc_end2:
	.size	_ZN2ck27kernel_gemm_xdl_cshuffle_v3INS_28GridwiseGemm_xdl_cshuffle_v3INS_13tensor_layout4gemm8RowMajorENS3_11ColumnMajorES4_DF16bNS_7pk_i4_tEfDF16bDF16bNS_16tensor_operation12element_wise11PassThroughES9_S9_LNS7_6device18GemmSpecializationE0ELi128ELi16ELi64ELi128ELi8ELi32ELi16ELi16ELi1ELi2ENS_8SequenceIJLi16ELi8ELi1EEEENSC_IJLi1ELi0ELi2EEEESE_Li2ELi8ELi8ELb0ELi0ENSC_IJLi4ELi32ELi1EEEESE_SE_Li2ELi32ELi32ELb0ELi0ELi1ELi1ENSC_IJLi1ELi16ELi1ELi8EEEELi4ELNS_26BlockGemmPipelineSchedulerE1ELNS_24BlockGemmPipelineVersionE1EDF16bDF16bLb0ELb1ELb0ELi0ELb0EEELb1ELNS_25InMemoryDataOperationEnumE1ELi2ELNS_10TailNumberE10EEEvNT_8ArgumentE, .Lfunc_end2-_ZN2ck27kernel_gemm_xdl_cshuffle_v3INS_28GridwiseGemm_xdl_cshuffle_v3INS_13tensor_layout4gemm8RowMajorENS3_11ColumnMajorES4_DF16bNS_7pk_i4_tEfDF16bDF16bNS_16tensor_operation12element_wise11PassThroughES9_S9_LNS7_6device18GemmSpecializationE0ELi128ELi16ELi64ELi128ELi8ELi32ELi16ELi16ELi1ELi2ENS_8SequenceIJLi16ELi8ELi1EEEENSC_IJLi1ELi0ELi2EEEESE_Li2ELi8ELi8ELb0ELi0ENSC_IJLi4ELi32ELi1EEEESE_SE_Li2ELi32ELi32ELb0ELi0ELi1ELi1ENSC_IJLi1ELi16ELi1ELi8EEEELi4ELNS_26BlockGemmPipelineSchedulerE1ELNS_24BlockGemmPipelineVersionE1EDF16bDF16bLb0ELb1ELb0ELi0ELb0EEELb1ELNS_25InMemoryDataOperationEnumE1ELi2ELNS_10TailNumberE10EEEvNT_8ArgumentE
                                        ; -- End function
	.set _ZN2ck27kernel_gemm_xdl_cshuffle_v3INS_28GridwiseGemm_xdl_cshuffle_v3INS_13tensor_layout4gemm8RowMajorENS3_11ColumnMajorES4_DF16bNS_7pk_i4_tEfDF16bDF16bNS_16tensor_operation12element_wise11PassThroughES9_S9_LNS7_6device18GemmSpecializationE0ELi128ELi16ELi64ELi128ELi8ELi32ELi16ELi16ELi1ELi2ENS_8SequenceIJLi16ELi8ELi1EEEENSC_IJLi1ELi0ELi2EEEESE_Li2ELi8ELi8ELb0ELi0ENSC_IJLi4ELi32ELi1EEEESE_SE_Li2ELi32ELi32ELb0ELi0ELi1ELi1ENSC_IJLi1ELi16ELi1ELi8EEEELi4ELNS_26BlockGemmPipelineSchedulerE1ELNS_24BlockGemmPipelineVersionE1EDF16bDF16bLb0ELb1ELb0ELi0ELb0EEELb1ELNS_25InMemoryDataOperationEnumE1ELi2ELNS_10TailNumberE10EEEvNT_8ArgumentE.num_vgpr, 0
	.set _ZN2ck27kernel_gemm_xdl_cshuffle_v3INS_28GridwiseGemm_xdl_cshuffle_v3INS_13tensor_layout4gemm8RowMajorENS3_11ColumnMajorES4_DF16bNS_7pk_i4_tEfDF16bDF16bNS_16tensor_operation12element_wise11PassThroughES9_S9_LNS7_6device18GemmSpecializationE0ELi128ELi16ELi64ELi128ELi8ELi32ELi16ELi16ELi1ELi2ENS_8SequenceIJLi16ELi8ELi1EEEENSC_IJLi1ELi0ELi2EEEESE_Li2ELi8ELi8ELb0ELi0ENSC_IJLi4ELi32ELi1EEEESE_SE_Li2ELi32ELi32ELb0ELi0ELi1ELi1ENSC_IJLi1ELi16ELi1ELi8EEEELi4ELNS_26BlockGemmPipelineSchedulerE1ELNS_24BlockGemmPipelineVersionE1EDF16bDF16bLb0ELb1ELb0ELi0ELb0EEELb1ELNS_25InMemoryDataOperationEnumE1ELi2ELNS_10TailNumberE10EEEvNT_8ArgumentE.num_agpr, 0
	.set _ZN2ck27kernel_gemm_xdl_cshuffle_v3INS_28GridwiseGemm_xdl_cshuffle_v3INS_13tensor_layout4gemm8RowMajorENS3_11ColumnMajorES4_DF16bNS_7pk_i4_tEfDF16bDF16bNS_16tensor_operation12element_wise11PassThroughES9_S9_LNS7_6device18GemmSpecializationE0ELi128ELi16ELi64ELi128ELi8ELi32ELi16ELi16ELi1ELi2ENS_8SequenceIJLi16ELi8ELi1EEEENSC_IJLi1ELi0ELi2EEEESE_Li2ELi8ELi8ELb0ELi0ENSC_IJLi4ELi32ELi1EEEESE_SE_Li2ELi32ELi32ELb0ELi0ELi1ELi1ENSC_IJLi1ELi16ELi1ELi8EEEELi4ELNS_26BlockGemmPipelineSchedulerE1ELNS_24BlockGemmPipelineVersionE1EDF16bDF16bLb0ELb1ELb0ELi0ELb0EEELb1ELNS_25InMemoryDataOperationEnumE1ELi2ELNS_10TailNumberE10EEEvNT_8ArgumentE.numbered_sgpr, 0
	.set _ZN2ck27kernel_gemm_xdl_cshuffle_v3INS_28GridwiseGemm_xdl_cshuffle_v3INS_13tensor_layout4gemm8RowMajorENS3_11ColumnMajorES4_DF16bNS_7pk_i4_tEfDF16bDF16bNS_16tensor_operation12element_wise11PassThroughES9_S9_LNS7_6device18GemmSpecializationE0ELi128ELi16ELi64ELi128ELi8ELi32ELi16ELi16ELi1ELi2ENS_8SequenceIJLi16ELi8ELi1EEEENSC_IJLi1ELi0ELi2EEEESE_Li2ELi8ELi8ELb0ELi0ENSC_IJLi4ELi32ELi1EEEESE_SE_Li2ELi32ELi32ELb0ELi0ELi1ELi1ENSC_IJLi1ELi16ELi1ELi8EEEELi4ELNS_26BlockGemmPipelineSchedulerE1ELNS_24BlockGemmPipelineVersionE1EDF16bDF16bLb0ELb1ELb0ELi0ELb0EEELb1ELNS_25InMemoryDataOperationEnumE1ELi2ELNS_10TailNumberE10EEEvNT_8ArgumentE.num_named_barrier, 0
	.set _ZN2ck27kernel_gemm_xdl_cshuffle_v3INS_28GridwiseGemm_xdl_cshuffle_v3INS_13tensor_layout4gemm8RowMajorENS3_11ColumnMajorES4_DF16bNS_7pk_i4_tEfDF16bDF16bNS_16tensor_operation12element_wise11PassThroughES9_S9_LNS7_6device18GemmSpecializationE0ELi128ELi16ELi64ELi128ELi8ELi32ELi16ELi16ELi1ELi2ENS_8SequenceIJLi16ELi8ELi1EEEENSC_IJLi1ELi0ELi2EEEESE_Li2ELi8ELi8ELb0ELi0ENSC_IJLi4ELi32ELi1EEEESE_SE_Li2ELi32ELi32ELb0ELi0ELi1ELi1ENSC_IJLi1ELi16ELi1ELi8EEEELi4ELNS_26BlockGemmPipelineSchedulerE1ELNS_24BlockGemmPipelineVersionE1EDF16bDF16bLb0ELb1ELb0ELi0ELb0EEELb1ELNS_25InMemoryDataOperationEnumE1ELi2ELNS_10TailNumberE10EEEvNT_8ArgumentE.private_seg_size, 0
	.set _ZN2ck27kernel_gemm_xdl_cshuffle_v3INS_28GridwiseGemm_xdl_cshuffle_v3INS_13tensor_layout4gemm8RowMajorENS3_11ColumnMajorES4_DF16bNS_7pk_i4_tEfDF16bDF16bNS_16tensor_operation12element_wise11PassThroughES9_S9_LNS7_6device18GemmSpecializationE0ELi128ELi16ELi64ELi128ELi8ELi32ELi16ELi16ELi1ELi2ENS_8SequenceIJLi16ELi8ELi1EEEENSC_IJLi1ELi0ELi2EEEESE_Li2ELi8ELi8ELb0ELi0ENSC_IJLi4ELi32ELi1EEEESE_SE_Li2ELi32ELi32ELb0ELi0ELi1ELi1ENSC_IJLi1ELi16ELi1ELi8EEEELi4ELNS_26BlockGemmPipelineSchedulerE1ELNS_24BlockGemmPipelineVersionE1EDF16bDF16bLb0ELb1ELb0ELi0ELb0EEELb1ELNS_25InMemoryDataOperationEnumE1ELi2ELNS_10TailNumberE10EEEvNT_8ArgumentE.uses_vcc, 0
	.set _ZN2ck27kernel_gemm_xdl_cshuffle_v3INS_28GridwiseGemm_xdl_cshuffle_v3INS_13tensor_layout4gemm8RowMajorENS3_11ColumnMajorES4_DF16bNS_7pk_i4_tEfDF16bDF16bNS_16tensor_operation12element_wise11PassThroughES9_S9_LNS7_6device18GemmSpecializationE0ELi128ELi16ELi64ELi128ELi8ELi32ELi16ELi16ELi1ELi2ENS_8SequenceIJLi16ELi8ELi1EEEENSC_IJLi1ELi0ELi2EEEESE_Li2ELi8ELi8ELb0ELi0ENSC_IJLi4ELi32ELi1EEEESE_SE_Li2ELi32ELi32ELb0ELi0ELi1ELi1ENSC_IJLi1ELi16ELi1ELi8EEEELi4ELNS_26BlockGemmPipelineSchedulerE1ELNS_24BlockGemmPipelineVersionE1EDF16bDF16bLb0ELb1ELb0ELi0ELb0EEELb1ELNS_25InMemoryDataOperationEnumE1ELi2ELNS_10TailNumberE10EEEvNT_8ArgumentE.uses_flat_scratch, 0
	.set _ZN2ck27kernel_gemm_xdl_cshuffle_v3INS_28GridwiseGemm_xdl_cshuffle_v3INS_13tensor_layout4gemm8RowMajorENS3_11ColumnMajorES4_DF16bNS_7pk_i4_tEfDF16bDF16bNS_16tensor_operation12element_wise11PassThroughES9_S9_LNS7_6device18GemmSpecializationE0ELi128ELi16ELi64ELi128ELi8ELi32ELi16ELi16ELi1ELi2ENS_8SequenceIJLi16ELi8ELi1EEEENSC_IJLi1ELi0ELi2EEEESE_Li2ELi8ELi8ELb0ELi0ENSC_IJLi4ELi32ELi1EEEESE_SE_Li2ELi32ELi32ELb0ELi0ELi1ELi1ENSC_IJLi1ELi16ELi1ELi8EEEELi4ELNS_26BlockGemmPipelineSchedulerE1ELNS_24BlockGemmPipelineVersionE1EDF16bDF16bLb0ELb1ELb0ELi0ELb0EEELb1ELNS_25InMemoryDataOperationEnumE1ELi2ELNS_10TailNumberE10EEEvNT_8ArgumentE.has_dyn_sized_stack, 0
	.set _ZN2ck27kernel_gemm_xdl_cshuffle_v3INS_28GridwiseGemm_xdl_cshuffle_v3INS_13tensor_layout4gemm8RowMajorENS3_11ColumnMajorES4_DF16bNS_7pk_i4_tEfDF16bDF16bNS_16tensor_operation12element_wise11PassThroughES9_S9_LNS7_6device18GemmSpecializationE0ELi128ELi16ELi64ELi128ELi8ELi32ELi16ELi16ELi1ELi2ENS_8SequenceIJLi16ELi8ELi1EEEENSC_IJLi1ELi0ELi2EEEESE_Li2ELi8ELi8ELb0ELi0ENSC_IJLi4ELi32ELi1EEEESE_SE_Li2ELi32ELi32ELb0ELi0ELi1ELi1ENSC_IJLi1ELi16ELi1ELi8EEEELi4ELNS_26BlockGemmPipelineSchedulerE1ELNS_24BlockGemmPipelineVersionE1EDF16bDF16bLb0ELb1ELb0ELi0ELb0EEELb1ELNS_25InMemoryDataOperationEnumE1ELi2ELNS_10TailNumberE10EEEvNT_8ArgumentE.has_recursion, 0
	.set _ZN2ck27kernel_gemm_xdl_cshuffle_v3INS_28GridwiseGemm_xdl_cshuffle_v3INS_13tensor_layout4gemm8RowMajorENS3_11ColumnMajorES4_DF16bNS_7pk_i4_tEfDF16bDF16bNS_16tensor_operation12element_wise11PassThroughES9_S9_LNS7_6device18GemmSpecializationE0ELi128ELi16ELi64ELi128ELi8ELi32ELi16ELi16ELi1ELi2ENS_8SequenceIJLi16ELi8ELi1EEEENSC_IJLi1ELi0ELi2EEEESE_Li2ELi8ELi8ELb0ELi0ENSC_IJLi4ELi32ELi1EEEESE_SE_Li2ELi32ELi32ELb0ELi0ELi1ELi1ENSC_IJLi1ELi16ELi1ELi8EEEELi4ELNS_26BlockGemmPipelineSchedulerE1ELNS_24BlockGemmPipelineVersionE1EDF16bDF16bLb0ELb1ELb0ELi0ELb0EEELb1ELNS_25InMemoryDataOperationEnumE1ELi2ELNS_10TailNumberE10EEEvNT_8ArgumentE.has_indirect_call, 0
	.section	.AMDGPU.csdata,"",@progbits
; Kernel info:
; codeLenInByte = 4
; TotalNumSgprs: 0
; NumVgprs: 0
; ScratchSize: 0
; MemoryBound: 0
; FloatMode: 240
; IeeeMode: 1
; LDSByteSize: 0 bytes/workgroup (compile time only)
; SGPRBlocks: 0
; VGPRBlocks: 0
; NumSGPRsForWavesPerEU: 1
; NumVGPRsForWavesPerEU: 1
; Occupancy: 16
; WaveLimiterHint : 0
; COMPUTE_PGM_RSRC2:SCRATCH_EN: 0
; COMPUTE_PGM_RSRC2:USER_SGPR: 2
; COMPUTE_PGM_RSRC2:TRAP_HANDLER: 0
; COMPUTE_PGM_RSRC2:TGID_X_EN: 1
; COMPUTE_PGM_RSRC2:TGID_Y_EN: 0
; COMPUTE_PGM_RSRC2:TGID_Z_EN: 0
; COMPUTE_PGM_RSRC2:TIDIG_COMP_CNT: 0
	.section	.text._ZN2ck27kernel_gemm_xdl_cshuffle_v3INS_28GridwiseGemm_xdl_cshuffle_v3INS_13tensor_layout4gemm8RowMajorENS3_11ColumnMajorES4_DF16bNS_7pk_i4_tEfDF16bDF16bNS_16tensor_operation12element_wise11PassThroughES9_S9_LNS7_6device18GemmSpecializationE0ELi128ELi16ELi64ELi128ELi8ELi32ELi16ELi16ELi1ELi2ENS_8SequenceIJLi16ELi8ELi1EEEENSC_IJLi1ELi0ELi2EEEESE_Li2ELi8ELi8ELb0ELi0ENSC_IJLi4ELi32ELi1EEEESE_SE_Li2ELi32ELi32ELb0ELi0ELi1ELi1ENSC_IJLi1ELi16ELi1ELi8EEEELi4ELNS_26BlockGemmPipelineSchedulerE1ELNS_24BlockGemmPipelineVersionE1EDF16bDF16bLb0ELb1ELb0ELi0ELb0EEELb1ELNS_25InMemoryDataOperationEnumE0ELi2ELNS_10TailNumberE2EEEvNT_8ArgumentE,"axG",@progbits,_ZN2ck27kernel_gemm_xdl_cshuffle_v3INS_28GridwiseGemm_xdl_cshuffle_v3INS_13tensor_layout4gemm8RowMajorENS3_11ColumnMajorES4_DF16bNS_7pk_i4_tEfDF16bDF16bNS_16tensor_operation12element_wise11PassThroughES9_S9_LNS7_6device18GemmSpecializationE0ELi128ELi16ELi64ELi128ELi8ELi32ELi16ELi16ELi1ELi2ENS_8SequenceIJLi16ELi8ELi1EEEENSC_IJLi1ELi0ELi2EEEESE_Li2ELi8ELi8ELb0ELi0ENSC_IJLi4ELi32ELi1EEEESE_SE_Li2ELi32ELi32ELb0ELi0ELi1ELi1ENSC_IJLi1ELi16ELi1ELi8EEEELi4ELNS_26BlockGemmPipelineSchedulerE1ELNS_24BlockGemmPipelineVersionE1EDF16bDF16bLb0ELb1ELb0ELi0ELb0EEELb1ELNS_25InMemoryDataOperationEnumE0ELi2ELNS_10TailNumberE2EEEvNT_8ArgumentE,comdat
	.protected	_ZN2ck27kernel_gemm_xdl_cshuffle_v3INS_28GridwiseGemm_xdl_cshuffle_v3INS_13tensor_layout4gemm8RowMajorENS3_11ColumnMajorES4_DF16bNS_7pk_i4_tEfDF16bDF16bNS_16tensor_operation12element_wise11PassThroughES9_S9_LNS7_6device18GemmSpecializationE0ELi128ELi16ELi64ELi128ELi8ELi32ELi16ELi16ELi1ELi2ENS_8SequenceIJLi16ELi8ELi1EEEENSC_IJLi1ELi0ELi2EEEESE_Li2ELi8ELi8ELb0ELi0ENSC_IJLi4ELi32ELi1EEEESE_SE_Li2ELi32ELi32ELb0ELi0ELi1ELi1ENSC_IJLi1ELi16ELi1ELi8EEEELi4ELNS_26BlockGemmPipelineSchedulerE1ELNS_24BlockGemmPipelineVersionE1EDF16bDF16bLb0ELb1ELb0ELi0ELb0EEELb1ELNS_25InMemoryDataOperationEnumE0ELi2ELNS_10TailNumberE2EEEvNT_8ArgumentE ; -- Begin function _ZN2ck27kernel_gemm_xdl_cshuffle_v3INS_28GridwiseGemm_xdl_cshuffle_v3INS_13tensor_layout4gemm8RowMajorENS3_11ColumnMajorES4_DF16bNS_7pk_i4_tEfDF16bDF16bNS_16tensor_operation12element_wise11PassThroughES9_S9_LNS7_6device18GemmSpecializationE0ELi128ELi16ELi64ELi128ELi8ELi32ELi16ELi16ELi1ELi2ENS_8SequenceIJLi16ELi8ELi1EEEENSC_IJLi1ELi0ELi2EEEESE_Li2ELi8ELi8ELb0ELi0ENSC_IJLi4ELi32ELi1EEEESE_SE_Li2ELi32ELi32ELb0ELi0ELi1ELi1ENSC_IJLi1ELi16ELi1ELi8EEEELi4ELNS_26BlockGemmPipelineSchedulerE1ELNS_24BlockGemmPipelineVersionE1EDF16bDF16bLb0ELb1ELb0ELi0ELb0EEELb1ELNS_25InMemoryDataOperationEnumE0ELi2ELNS_10TailNumberE2EEEvNT_8ArgumentE
	.globl	_ZN2ck27kernel_gemm_xdl_cshuffle_v3INS_28GridwiseGemm_xdl_cshuffle_v3INS_13tensor_layout4gemm8RowMajorENS3_11ColumnMajorES4_DF16bNS_7pk_i4_tEfDF16bDF16bNS_16tensor_operation12element_wise11PassThroughES9_S9_LNS7_6device18GemmSpecializationE0ELi128ELi16ELi64ELi128ELi8ELi32ELi16ELi16ELi1ELi2ENS_8SequenceIJLi16ELi8ELi1EEEENSC_IJLi1ELi0ELi2EEEESE_Li2ELi8ELi8ELb0ELi0ENSC_IJLi4ELi32ELi1EEEESE_SE_Li2ELi32ELi32ELb0ELi0ELi1ELi1ENSC_IJLi1ELi16ELi1ELi8EEEELi4ELNS_26BlockGemmPipelineSchedulerE1ELNS_24BlockGemmPipelineVersionE1EDF16bDF16bLb0ELb1ELb0ELi0ELb0EEELb1ELNS_25InMemoryDataOperationEnumE0ELi2ELNS_10TailNumberE2EEEvNT_8ArgumentE
	.p2align	8
	.type	_ZN2ck27kernel_gemm_xdl_cshuffle_v3INS_28GridwiseGemm_xdl_cshuffle_v3INS_13tensor_layout4gemm8RowMajorENS3_11ColumnMajorES4_DF16bNS_7pk_i4_tEfDF16bDF16bNS_16tensor_operation12element_wise11PassThroughES9_S9_LNS7_6device18GemmSpecializationE0ELi128ELi16ELi64ELi128ELi8ELi32ELi16ELi16ELi1ELi2ENS_8SequenceIJLi16ELi8ELi1EEEENSC_IJLi1ELi0ELi2EEEESE_Li2ELi8ELi8ELb0ELi0ENSC_IJLi4ELi32ELi1EEEESE_SE_Li2ELi32ELi32ELb0ELi0ELi1ELi1ENSC_IJLi1ELi16ELi1ELi8EEEELi4ELNS_26BlockGemmPipelineSchedulerE1ELNS_24BlockGemmPipelineVersionE1EDF16bDF16bLb0ELb1ELb0ELi0ELb0EEELb1ELNS_25InMemoryDataOperationEnumE0ELi2ELNS_10TailNumberE2EEEvNT_8ArgumentE,@function
_ZN2ck27kernel_gemm_xdl_cshuffle_v3INS_28GridwiseGemm_xdl_cshuffle_v3INS_13tensor_layout4gemm8RowMajorENS3_11ColumnMajorES4_DF16bNS_7pk_i4_tEfDF16bDF16bNS_16tensor_operation12element_wise11PassThroughES9_S9_LNS7_6device18GemmSpecializationE0ELi128ELi16ELi64ELi128ELi8ELi32ELi16ELi16ELi1ELi2ENS_8SequenceIJLi16ELi8ELi1EEEENSC_IJLi1ELi0ELi2EEEESE_Li2ELi8ELi8ELb0ELi0ENSC_IJLi4ELi32ELi1EEEESE_SE_Li2ELi32ELi32ELb0ELi0ELi1ELi1ENSC_IJLi1ELi16ELi1ELi8EEEELi4ELNS_26BlockGemmPipelineSchedulerE1ELNS_24BlockGemmPipelineVersionE1EDF16bDF16bLb0ELb1ELb0ELi0ELb0EEELb1ELNS_25InMemoryDataOperationEnumE0ELi2ELNS_10TailNumberE2EEEvNT_8ArgumentE: ; @_ZN2ck27kernel_gemm_xdl_cshuffle_v3INS_28GridwiseGemm_xdl_cshuffle_v3INS_13tensor_layout4gemm8RowMajorENS3_11ColumnMajorES4_DF16bNS_7pk_i4_tEfDF16bDF16bNS_16tensor_operation12element_wise11PassThroughES9_S9_LNS7_6device18GemmSpecializationE0ELi128ELi16ELi64ELi128ELi8ELi32ELi16ELi16ELi1ELi2ENS_8SequenceIJLi16ELi8ELi1EEEENSC_IJLi1ELi0ELi2EEEESE_Li2ELi8ELi8ELb0ELi0ENSC_IJLi4ELi32ELi1EEEESE_SE_Li2ELi32ELi32ELb0ELi0ELi1ELi1ENSC_IJLi1ELi16ELi1ELi8EEEELi4ELNS_26BlockGemmPipelineSchedulerE1ELNS_24BlockGemmPipelineVersionE1EDF16bDF16bLb0ELb1ELb0ELi0ELb0EEELb1ELNS_25InMemoryDataOperationEnumE0ELi2ELNS_10TailNumberE2EEEvNT_8ArgumentE
; %bb.0:
	s_endpgm
	.section	.rodata,"a",@progbits
	.p2align	6, 0x0
	.amdhsa_kernel _ZN2ck27kernel_gemm_xdl_cshuffle_v3INS_28GridwiseGemm_xdl_cshuffle_v3INS_13tensor_layout4gemm8RowMajorENS3_11ColumnMajorES4_DF16bNS_7pk_i4_tEfDF16bDF16bNS_16tensor_operation12element_wise11PassThroughES9_S9_LNS7_6device18GemmSpecializationE0ELi128ELi16ELi64ELi128ELi8ELi32ELi16ELi16ELi1ELi2ENS_8SequenceIJLi16ELi8ELi1EEEENSC_IJLi1ELi0ELi2EEEESE_Li2ELi8ELi8ELb0ELi0ENSC_IJLi4ELi32ELi1EEEESE_SE_Li2ELi32ELi32ELb0ELi0ELi1ELi1ENSC_IJLi1ELi16ELi1ELi8EEEELi4ELNS_26BlockGemmPipelineSchedulerE1ELNS_24BlockGemmPipelineVersionE1EDF16bDF16bLb0ELb1ELb0ELi0ELb0EEELb1ELNS_25InMemoryDataOperationEnumE0ELi2ELNS_10TailNumberE2EEEvNT_8ArgumentE
		.amdhsa_group_segment_fixed_size 0
		.amdhsa_private_segment_fixed_size 0
		.amdhsa_kernarg_size 112
		.amdhsa_user_sgpr_count 2
		.amdhsa_user_sgpr_dispatch_ptr 0
		.amdhsa_user_sgpr_queue_ptr 0
		.amdhsa_user_sgpr_kernarg_segment_ptr 1
		.amdhsa_user_sgpr_dispatch_id 0
		.amdhsa_user_sgpr_private_segment_size 0
		.amdhsa_wavefront_size32 1
		.amdhsa_uses_dynamic_stack 0
		.amdhsa_enable_private_segment 0
		.amdhsa_system_sgpr_workgroup_id_x 1
		.amdhsa_system_sgpr_workgroup_id_y 0
		.amdhsa_system_sgpr_workgroup_id_z 0
		.amdhsa_system_sgpr_workgroup_info 0
		.amdhsa_system_vgpr_workitem_id 0
		.amdhsa_next_free_vgpr 1
		.amdhsa_next_free_sgpr 1
		.amdhsa_reserve_vcc 0
		.amdhsa_float_round_mode_32 0
		.amdhsa_float_round_mode_16_64 0
		.amdhsa_float_denorm_mode_32 3
		.amdhsa_float_denorm_mode_16_64 3
		.amdhsa_fp16_overflow 0
		.amdhsa_workgroup_processor_mode 1
		.amdhsa_memory_ordered 1
		.amdhsa_forward_progress 1
		.amdhsa_inst_pref_size 1
		.amdhsa_round_robin_scheduling 0
		.amdhsa_exception_fp_ieee_invalid_op 0
		.amdhsa_exception_fp_denorm_src 0
		.amdhsa_exception_fp_ieee_div_zero 0
		.amdhsa_exception_fp_ieee_overflow 0
		.amdhsa_exception_fp_ieee_underflow 0
		.amdhsa_exception_fp_ieee_inexact 0
		.amdhsa_exception_int_div_zero 0
	.end_amdhsa_kernel
	.section	.text._ZN2ck27kernel_gemm_xdl_cshuffle_v3INS_28GridwiseGemm_xdl_cshuffle_v3INS_13tensor_layout4gemm8RowMajorENS3_11ColumnMajorES4_DF16bNS_7pk_i4_tEfDF16bDF16bNS_16tensor_operation12element_wise11PassThroughES9_S9_LNS7_6device18GemmSpecializationE0ELi128ELi16ELi64ELi128ELi8ELi32ELi16ELi16ELi1ELi2ENS_8SequenceIJLi16ELi8ELi1EEEENSC_IJLi1ELi0ELi2EEEESE_Li2ELi8ELi8ELb0ELi0ENSC_IJLi4ELi32ELi1EEEESE_SE_Li2ELi32ELi32ELb0ELi0ELi1ELi1ENSC_IJLi1ELi16ELi1ELi8EEEELi4ELNS_26BlockGemmPipelineSchedulerE1ELNS_24BlockGemmPipelineVersionE1EDF16bDF16bLb0ELb1ELb0ELi0ELb0EEELb1ELNS_25InMemoryDataOperationEnumE0ELi2ELNS_10TailNumberE2EEEvNT_8ArgumentE,"axG",@progbits,_ZN2ck27kernel_gemm_xdl_cshuffle_v3INS_28GridwiseGemm_xdl_cshuffle_v3INS_13tensor_layout4gemm8RowMajorENS3_11ColumnMajorES4_DF16bNS_7pk_i4_tEfDF16bDF16bNS_16tensor_operation12element_wise11PassThroughES9_S9_LNS7_6device18GemmSpecializationE0ELi128ELi16ELi64ELi128ELi8ELi32ELi16ELi16ELi1ELi2ENS_8SequenceIJLi16ELi8ELi1EEEENSC_IJLi1ELi0ELi2EEEESE_Li2ELi8ELi8ELb0ELi0ENSC_IJLi4ELi32ELi1EEEESE_SE_Li2ELi32ELi32ELb0ELi0ELi1ELi1ENSC_IJLi1ELi16ELi1ELi8EEEELi4ELNS_26BlockGemmPipelineSchedulerE1ELNS_24BlockGemmPipelineVersionE1EDF16bDF16bLb0ELb1ELb0ELi0ELb0EEELb1ELNS_25InMemoryDataOperationEnumE0ELi2ELNS_10TailNumberE2EEEvNT_8ArgumentE,comdat
.Lfunc_end3:
	.size	_ZN2ck27kernel_gemm_xdl_cshuffle_v3INS_28GridwiseGemm_xdl_cshuffle_v3INS_13tensor_layout4gemm8RowMajorENS3_11ColumnMajorES4_DF16bNS_7pk_i4_tEfDF16bDF16bNS_16tensor_operation12element_wise11PassThroughES9_S9_LNS7_6device18GemmSpecializationE0ELi128ELi16ELi64ELi128ELi8ELi32ELi16ELi16ELi1ELi2ENS_8SequenceIJLi16ELi8ELi1EEEENSC_IJLi1ELi0ELi2EEEESE_Li2ELi8ELi8ELb0ELi0ENSC_IJLi4ELi32ELi1EEEESE_SE_Li2ELi32ELi32ELb0ELi0ELi1ELi1ENSC_IJLi1ELi16ELi1ELi8EEEELi4ELNS_26BlockGemmPipelineSchedulerE1ELNS_24BlockGemmPipelineVersionE1EDF16bDF16bLb0ELb1ELb0ELi0ELb0EEELb1ELNS_25InMemoryDataOperationEnumE0ELi2ELNS_10TailNumberE2EEEvNT_8ArgumentE, .Lfunc_end3-_ZN2ck27kernel_gemm_xdl_cshuffle_v3INS_28GridwiseGemm_xdl_cshuffle_v3INS_13tensor_layout4gemm8RowMajorENS3_11ColumnMajorES4_DF16bNS_7pk_i4_tEfDF16bDF16bNS_16tensor_operation12element_wise11PassThroughES9_S9_LNS7_6device18GemmSpecializationE0ELi128ELi16ELi64ELi128ELi8ELi32ELi16ELi16ELi1ELi2ENS_8SequenceIJLi16ELi8ELi1EEEENSC_IJLi1ELi0ELi2EEEESE_Li2ELi8ELi8ELb0ELi0ENSC_IJLi4ELi32ELi1EEEESE_SE_Li2ELi32ELi32ELb0ELi0ELi1ELi1ENSC_IJLi1ELi16ELi1ELi8EEEELi4ELNS_26BlockGemmPipelineSchedulerE1ELNS_24BlockGemmPipelineVersionE1EDF16bDF16bLb0ELb1ELb0ELi0ELb0EEELb1ELNS_25InMemoryDataOperationEnumE0ELi2ELNS_10TailNumberE2EEEvNT_8ArgumentE
                                        ; -- End function
	.set _ZN2ck27kernel_gemm_xdl_cshuffle_v3INS_28GridwiseGemm_xdl_cshuffle_v3INS_13tensor_layout4gemm8RowMajorENS3_11ColumnMajorES4_DF16bNS_7pk_i4_tEfDF16bDF16bNS_16tensor_operation12element_wise11PassThroughES9_S9_LNS7_6device18GemmSpecializationE0ELi128ELi16ELi64ELi128ELi8ELi32ELi16ELi16ELi1ELi2ENS_8SequenceIJLi16ELi8ELi1EEEENSC_IJLi1ELi0ELi2EEEESE_Li2ELi8ELi8ELb0ELi0ENSC_IJLi4ELi32ELi1EEEESE_SE_Li2ELi32ELi32ELb0ELi0ELi1ELi1ENSC_IJLi1ELi16ELi1ELi8EEEELi4ELNS_26BlockGemmPipelineSchedulerE1ELNS_24BlockGemmPipelineVersionE1EDF16bDF16bLb0ELb1ELb0ELi0ELb0EEELb1ELNS_25InMemoryDataOperationEnumE0ELi2ELNS_10TailNumberE2EEEvNT_8ArgumentE.num_vgpr, 0
	.set _ZN2ck27kernel_gemm_xdl_cshuffle_v3INS_28GridwiseGemm_xdl_cshuffle_v3INS_13tensor_layout4gemm8RowMajorENS3_11ColumnMajorES4_DF16bNS_7pk_i4_tEfDF16bDF16bNS_16tensor_operation12element_wise11PassThroughES9_S9_LNS7_6device18GemmSpecializationE0ELi128ELi16ELi64ELi128ELi8ELi32ELi16ELi16ELi1ELi2ENS_8SequenceIJLi16ELi8ELi1EEEENSC_IJLi1ELi0ELi2EEEESE_Li2ELi8ELi8ELb0ELi0ENSC_IJLi4ELi32ELi1EEEESE_SE_Li2ELi32ELi32ELb0ELi0ELi1ELi1ENSC_IJLi1ELi16ELi1ELi8EEEELi4ELNS_26BlockGemmPipelineSchedulerE1ELNS_24BlockGemmPipelineVersionE1EDF16bDF16bLb0ELb1ELb0ELi0ELb0EEELb1ELNS_25InMemoryDataOperationEnumE0ELi2ELNS_10TailNumberE2EEEvNT_8ArgumentE.num_agpr, 0
	.set _ZN2ck27kernel_gemm_xdl_cshuffle_v3INS_28GridwiseGemm_xdl_cshuffle_v3INS_13tensor_layout4gemm8RowMajorENS3_11ColumnMajorES4_DF16bNS_7pk_i4_tEfDF16bDF16bNS_16tensor_operation12element_wise11PassThroughES9_S9_LNS7_6device18GemmSpecializationE0ELi128ELi16ELi64ELi128ELi8ELi32ELi16ELi16ELi1ELi2ENS_8SequenceIJLi16ELi8ELi1EEEENSC_IJLi1ELi0ELi2EEEESE_Li2ELi8ELi8ELb0ELi0ENSC_IJLi4ELi32ELi1EEEESE_SE_Li2ELi32ELi32ELb0ELi0ELi1ELi1ENSC_IJLi1ELi16ELi1ELi8EEEELi4ELNS_26BlockGemmPipelineSchedulerE1ELNS_24BlockGemmPipelineVersionE1EDF16bDF16bLb0ELb1ELb0ELi0ELb0EEELb1ELNS_25InMemoryDataOperationEnumE0ELi2ELNS_10TailNumberE2EEEvNT_8ArgumentE.numbered_sgpr, 0
	.set _ZN2ck27kernel_gemm_xdl_cshuffle_v3INS_28GridwiseGemm_xdl_cshuffle_v3INS_13tensor_layout4gemm8RowMajorENS3_11ColumnMajorES4_DF16bNS_7pk_i4_tEfDF16bDF16bNS_16tensor_operation12element_wise11PassThroughES9_S9_LNS7_6device18GemmSpecializationE0ELi128ELi16ELi64ELi128ELi8ELi32ELi16ELi16ELi1ELi2ENS_8SequenceIJLi16ELi8ELi1EEEENSC_IJLi1ELi0ELi2EEEESE_Li2ELi8ELi8ELb0ELi0ENSC_IJLi4ELi32ELi1EEEESE_SE_Li2ELi32ELi32ELb0ELi0ELi1ELi1ENSC_IJLi1ELi16ELi1ELi8EEEELi4ELNS_26BlockGemmPipelineSchedulerE1ELNS_24BlockGemmPipelineVersionE1EDF16bDF16bLb0ELb1ELb0ELi0ELb0EEELb1ELNS_25InMemoryDataOperationEnumE0ELi2ELNS_10TailNumberE2EEEvNT_8ArgumentE.num_named_barrier, 0
	.set _ZN2ck27kernel_gemm_xdl_cshuffle_v3INS_28GridwiseGemm_xdl_cshuffle_v3INS_13tensor_layout4gemm8RowMajorENS3_11ColumnMajorES4_DF16bNS_7pk_i4_tEfDF16bDF16bNS_16tensor_operation12element_wise11PassThroughES9_S9_LNS7_6device18GemmSpecializationE0ELi128ELi16ELi64ELi128ELi8ELi32ELi16ELi16ELi1ELi2ENS_8SequenceIJLi16ELi8ELi1EEEENSC_IJLi1ELi0ELi2EEEESE_Li2ELi8ELi8ELb0ELi0ENSC_IJLi4ELi32ELi1EEEESE_SE_Li2ELi32ELi32ELb0ELi0ELi1ELi1ENSC_IJLi1ELi16ELi1ELi8EEEELi4ELNS_26BlockGemmPipelineSchedulerE1ELNS_24BlockGemmPipelineVersionE1EDF16bDF16bLb0ELb1ELb0ELi0ELb0EEELb1ELNS_25InMemoryDataOperationEnumE0ELi2ELNS_10TailNumberE2EEEvNT_8ArgumentE.private_seg_size, 0
	.set _ZN2ck27kernel_gemm_xdl_cshuffle_v3INS_28GridwiseGemm_xdl_cshuffle_v3INS_13tensor_layout4gemm8RowMajorENS3_11ColumnMajorES4_DF16bNS_7pk_i4_tEfDF16bDF16bNS_16tensor_operation12element_wise11PassThroughES9_S9_LNS7_6device18GemmSpecializationE0ELi128ELi16ELi64ELi128ELi8ELi32ELi16ELi16ELi1ELi2ENS_8SequenceIJLi16ELi8ELi1EEEENSC_IJLi1ELi0ELi2EEEESE_Li2ELi8ELi8ELb0ELi0ENSC_IJLi4ELi32ELi1EEEESE_SE_Li2ELi32ELi32ELb0ELi0ELi1ELi1ENSC_IJLi1ELi16ELi1ELi8EEEELi4ELNS_26BlockGemmPipelineSchedulerE1ELNS_24BlockGemmPipelineVersionE1EDF16bDF16bLb0ELb1ELb0ELi0ELb0EEELb1ELNS_25InMemoryDataOperationEnumE0ELi2ELNS_10TailNumberE2EEEvNT_8ArgumentE.uses_vcc, 0
	.set _ZN2ck27kernel_gemm_xdl_cshuffle_v3INS_28GridwiseGemm_xdl_cshuffle_v3INS_13tensor_layout4gemm8RowMajorENS3_11ColumnMajorES4_DF16bNS_7pk_i4_tEfDF16bDF16bNS_16tensor_operation12element_wise11PassThroughES9_S9_LNS7_6device18GemmSpecializationE0ELi128ELi16ELi64ELi128ELi8ELi32ELi16ELi16ELi1ELi2ENS_8SequenceIJLi16ELi8ELi1EEEENSC_IJLi1ELi0ELi2EEEESE_Li2ELi8ELi8ELb0ELi0ENSC_IJLi4ELi32ELi1EEEESE_SE_Li2ELi32ELi32ELb0ELi0ELi1ELi1ENSC_IJLi1ELi16ELi1ELi8EEEELi4ELNS_26BlockGemmPipelineSchedulerE1ELNS_24BlockGemmPipelineVersionE1EDF16bDF16bLb0ELb1ELb0ELi0ELb0EEELb1ELNS_25InMemoryDataOperationEnumE0ELi2ELNS_10TailNumberE2EEEvNT_8ArgumentE.uses_flat_scratch, 0
	.set _ZN2ck27kernel_gemm_xdl_cshuffle_v3INS_28GridwiseGemm_xdl_cshuffle_v3INS_13tensor_layout4gemm8RowMajorENS3_11ColumnMajorES4_DF16bNS_7pk_i4_tEfDF16bDF16bNS_16tensor_operation12element_wise11PassThroughES9_S9_LNS7_6device18GemmSpecializationE0ELi128ELi16ELi64ELi128ELi8ELi32ELi16ELi16ELi1ELi2ENS_8SequenceIJLi16ELi8ELi1EEEENSC_IJLi1ELi0ELi2EEEESE_Li2ELi8ELi8ELb0ELi0ENSC_IJLi4ELi32ELi1EEEESE_SE_Li2ELi32ELi32ELb0ELi0ELi1ELi1ENSC_IJLi1ELi16ELi1ELi8EEEELi4ELNS_26BlockGemmPipelineSchedulerE1ELNS_24BlockGemmPipelineVersionE1EDF16bDF16bLb0ELb1ELb0ELi0ELb0EEELb1ELNS_25InMemoryDataOperationEnumE0ELi2ELNS_10TailNumberE2EEEvNT_8ArgumentE.has_dyn_sized_stack, 0
	.set _ZN2ck27kernel_gemm_xdl_cshuffle_v3INS_28GridwiseGemm_xdl_cshuffle_v3INS_13tensor_layout4gemm8RowMajorENS3_11ColumnMajorES4_DF16bNS_7pk_i4_tEfDF16bDF16bNS_16tensor_operation12element_wise11PassThroughES9_S9_LNS7_6device18GemmSpecializationE0ELi128ELi16ELi64ELi128ELi8ELi32ELi16ELi16ELi1ELi2ENS_8SequenceIJLi16ELi8ELi1EEEENSC_IJLi1ELi0ELi2EEEESE_Li2ELi8ELi8ELb0ELi0ENSC_IJLi4ELi32ELi1EEEESE_SE_Li2ELi32ELi32ELb0ELi0ELi1ELi1ENSC_IJLi1ELi16ELi1ELi8EEEELi4ELNS_26BlockGemmPipelineSchedulerE1ELNS_24BlockGemmPipelineVersionE1EDF16bDF16bLb0ELb1ELb0ELi0ELb0EEELb1ELNS_25InMemoryDataOperationEnumE0ELi2ELNS_10TailNumberE2EEEvNT_8ArgumentE.has_recursion, 0
	.set _ZN2ck27kernel_gemm_xdl_cshuffle_v3INS_28GridwiseGemm_xdl_cshuffle_v3INS_13tensor_layout4gemm8RowMajorENS3_11ColumnMajorES4_DF16bNS_7pk_i4_tEfDF16bDF16bNS_16tensor_operation12element_wise11PassThroughES9_S9_LNS7_6device18GemmSpecializationE0ELi128ELi16ELi64ELi128ELi8ELi32ELi16ELi16ELi1ELi2ENS_8SequenceIJLi16ELi8ELi1EEEENSC_IJLi1ELi0ELi2EEEESE_Li2ELi8ELi8ELb0ELi0ENSC_IJLi4ELi32ELi1EEEESE_SE_Li2ELi32ELi32ELb0ELi0ELi1ELi1ENSC_IJLi1ELi16ELi1ELi8EEEELi4ELNS_26BlockGemmPipelineSchedulerE1ELNS_24BlockGemmPipelineVersionE1EDF16bDF16bLb0ELb1ELb0ELi0ELb0EEELb1ELNS_25InMemoryDataOperationEnumE0ELi2ELNS_10TailNumberE2EEEvNT_8ArgumentE.has_indirect_call, 0
	.section	.AMDGPU.csdata,"",@progbits
; Kernel info:
; codeLenInByte = 4
; TotalNumSgprs: 0
; NumVgprs: 0
; ScratchSize: 0
; MemoryBound: 0
; FloatMode: 240
; IeeeMode: 1
; LDSByteSize: 0 bytes/workgroup (compile time only)
; SGPRBlocks: 0
; VGPRBlocks: 0
; NumSGPRsForWavesPerEU: 1
; NumVGPRsForWavesPerEU: 1
; Occupancy: 16
; WaveLimiterHint : 0
; COMPUTE_PGM_RSRC2:SCRATCH_EN: 0
; COMPUTE_PGM_RSRC2:USER_SGPR: 2
; COMPUTE_PGM_RSRC2:TRAP_HANDLER: 0
; COMPUTE_PGM_RSRC2:TGID_X_EN: 1
; COMPUTE_PGM_RSRC2:TGID_Y_EN: 0
; COMPUTE_PGM_RSRC2:TGID_Z_EN: 0
; COMPUTE_PGM_RSRC2:TIDIG_COMP_CNT: 0
	.section	.text._ZN2ck27kernel_gemm_xdl_cshuffle_v3INS_28GridwiseGemm_xdl_cshuffle_v3INS_13tensor_layout4gemm8RowMajorENS3_11ColumnMajorES4_DF16bNS_7pk_i4_tEfDF16bDF16bNS_16tensor_operation12element_wise11PassThroughES9_S9_LNS7_6device18GemmSpecializationE0ELi128ELi16ELi64ELi128ELi8ELi32ELi16ELi16ELi1ELi2ENS_8SequenceIJLi16ELi8ELi1EEEENSC_IJLi1ELi0ELi2EEEESE_Li2ELi8ELi8ELb0ELi0ENSC_IJLi4ELi32ELi1EEEESE_SE_Li2ELi32ELi32ELb0ELi0ELi1ELi1ENSC_IJLi1ELi16ELi1ELi8EEEELi4ELNS_26BlockGemmPipelineSchedulerE1ELNS_24BlockGemmPipelineVersionE1EDF16bDF16bLb0ELb1ELb0ELi0ELb0EEELb1ELNS_25InMemoryDataOperationEnumE0ELi2ELNS_10TailNumberE10EEEvNT_8ArgumentE,"axG",@progbits,_ZN2ck27kernel_gemm_xdl_cshuffle_v3INS_28GridwiseGemm_xdl_cshuffle_v3INS_13tensor_layout4gemm8RowMajorENS3_11ColumnMajorES4_DF16bNS_7pk_i4_tEfDF16bDF16bNS_16tensor_operation12element_wise11PassThroughES9_S9_LNS7_6device18GemmSpecializationE0ELi128ELi16ELi64ELi128ELi8ELi32ELi16ELi16ELi1ELi2ENS_8SequenceIJLi16ELi8ELi1EEEENSC_IJLi1ELi0ELi2EEEESE_Li2ELi8ELi8ELb0ELi0ENSC_IJLi4ELi32ELi1EEEESE_SE_Li2ELi32ELi32ELb0ELi0ELi1ELi1ENSC_IJLi1ELi16ELi1ELi8EEEELi4ELNS_26BlockGemmPipelineSchedulerE1ELNS_24BlockGemmPipelineVersionE1EDF16bDF16bLb0ELb1ELb0ELi0ELb0EEELb1ELNS_25InMemoryDataOperationEnumE0ELi2ELNS_10TailNumberE10EEEvNT_8ArgumentE,comdat
	.protected	_ZN2ck27kernel_gemm_xdl_cshuffle_v3INS_28GridwiseGemm_xdl_cshuffle_v3INS_13tensor_layout4gemm8RowMajorENS3_11ColumnMajorES4_DF16bNS_7pk_i4_tEfDF16bDF16bNS_16tensor_operation12element_wise11PassThroughES9_S9_LNS7_6device18GemmSpecializationE0ELi128ELi16ELi64ELi128ELi8ELi32ELi16ELi16ELi1ELi2ENS_8SequenceIJLi16ELi8ELi1EEEENSC_IJLi1ELi0ELi2EEEESE_Li2ELi8ELi8ELb0ELi0ENSC_IJLi4ELi32ELi1EEEESE_SE_Li2ELi32ELi32ELb0ELi0ELi1ELi1ENSC_IJLi1ELi16ELi1ELi8EEEELi4ELNS_26BlockGemmPipelineSchedulerE1ELNS_24BlockGemmPipelineVersionE1EDF16bDF16bLb0ELb1ELb0ELi0ELb0EEELb1ELNS_25InMemoryDataOperationEnumE0ELi2ELNS_10TailNumberE10EEEvNT_8ArgumentE ; -- Begin function _ZN2ck27kernel_gemm_xdl_cshuffle_v3INS_28GridwiseGemm_xdl_cshuffle_v3INS_13tensor_layout4gemm8RowMajorENS3_11ColumnMajorES4_DF16bNS_7pk_i4_tEfDF16bDF16bNS_16tensor_operation12element_wise11PassThroughES9_S9_LNS7_6device18GemmSpecializationE0ELi128ELi16ELi64ELi128ELi8ELi32ELi16ELi16ELi1ELi2ENS_8SequenceIJLi16ELi8ELi1EEEENSC_IJLi1ELi0ELi2EEEESE_Li2ELi8ELi8ELb0ELi0ENSC_IJLi4ELi32ELi1EEEESE_SE_Li2ELi32ELi32ELb0ELi0ELi1ELi1ENSC_IJLi1ELi16ELi1ELi8EEEELi4ELNS_26BlockGemmPipelineSchedulerE1ELNS_24BlockGemmPipelineVersionE1EDF16bDF16bLb0ELb1ELb0ELi0ELb0EEELb1ELNS_25InMemoryDataOperationEnumE0ELi2ELNS_10TailNumberE10EEEvNT_8ArgumentE
	.globl	_ZN2ck27kernel_gemm_xdl_cshuffle_v3INS_28GridwiseGemm_xdl_cshuffle_v3INS_13tensor_layout4gemm8RowMajorENS3_11ColumnMajorES4_DF16bNS_7pk_i4_tEfDF16bDF16bNS_16tensor_operation12element_wise11PassThroughES9_S9_LNS7_6device18GemmSpecializationE0ELi128ELi16ELi64ELi128ELi8ELi32ELi16ELi16ELi1ELi2ENS_8SequenceIJLi16ELi8ELi1EEEENSC_IJLi1ELi0ELi2EEEESE_Li2ELi8ELi8ELb0ELi0ENSC_IJLi4ELi32ELi1EEEESE_SE_Li2ELi32ELi32ELb0ELi0ELi1ELi1ENSC_IJLi1ELi16ELi1ELi8EEEELi4ELNS_26BlockGemmPipelineSchedulerE1ELNS_24BlockGemmPipelineVersionE1EDF16bDF16bLb0ELb1ELb0ELi0ELb0EEELb1ELNS_25InMemoryDataOperationEnumE0ELi2ELNS_10TailNumberE10EEEvNT_8ArgumentE
	.p2align	8
	.type	_ZN2ck27kernel_gemm_xdl_cshuffle_v3INS_28GridwiseGemm_xdl_cshuffle_v3INS_13tensor_layout4gemm8RowMajorENS3_11ColumnMajorES4_DF16bNS_7pk_i4_tEfDF16bDF16bNS_16tensor_operation12element_wise11PassThroughES9_S9_LNS7_6device18GemmSpecializationE0ELi128ELi16ELi64ELi128ELi8ELi32ELi16ELi16ELi1ELi2ENS_8SequenceIJLi16ELi8ELi1EEEENSC_IJLi1ELi0ELi2EEEESE_Li2ELi8ELi8ELb0ELi0ENSC_IJLi4ELi32ELi1EEEESE_SE_Li2ELi32ELi32ELb0ELi0ELi1ELi1ENSC_IJLi1ELi16ELi1ELi8EEEELi4ELNS_26BlockGemmPipelineSchedulerE1ELNS_24BlockGemmPipelineVersionE1EDF16bDF16bLb0ELb1ELb0ELi0ELb0EEELb1ELNS_25InMemoryDataOperationEnumE0ELi2ELNS_10TailNumberE10EEEvNT_8ArgumentE,@function
_ZN2ck27kernel_gemm_xdl_cshuffle_v3INS_28GridwiseGemm_xdl_cshuffle_v3INS_13tensor_layout4gemm8RowMajorENS3_11ColumnMajorES4_DF16bNS_7pk_i4_tEfDF16bDF16bNS_16tensor_operation12element_wise11PassThroughES9_S9_LNS7_6device18GemmSpecializationE0ELi128ELi16ELi64ELi128ELi8ELi32ELi16ELi16ELi1ELi2ENS_8SequenceIJLi16ELi8ELi1EEEENSC_IJLi1ELi0ELi2EEEESE_Li2ELi8ELi8ELb0ELi0ENSC_IJLi4ELi32ELi1EEEESE_SE_Li2ELi32ELi32ELb0ELi0ELi1ELi1ENSC_IJLi1ELi16ELi1ELi8EEEELi4ELNS_26BlockGemmPipelineSchedulerE1ELNS_24BlockGemmPipelineVersionE1EDF16bDF16bLb0ELb1ELb0ELi0ELb0EEELb1ELNS_25InMemoryDataOperationEnumE0ELi2ELNS_10TailNumberE10EEEvNT_8ArgumentE: ; @_ZN2ck27kernel_gemm_xdl_cshuffle_v3INS_28GridwiseGemm_xdl_cshuffle_v3INS_13tensor_layout4gemm8RowMajorENS3_11ColumnMajorES4_DF16bNS_7pk_i4_tEfDF16bDF16bNS_16tensor_operation12element_wise11PassThroughES9_S9_LNS7_6device18GemmSpecializationE0ELi128ELi16ELi64ELi128ELi8ELi32ELi16ELi16ELi1ELi2ENS_8SequenceIJLi16ELi8ELi1EEEENSC_IJLi1ELi0ELi2EEEESE_Li2ELi8ELi8ELb0ELi0ENSC_IJLi4ELi32ELi1EEEESE_SE_Li2ELi32ELi32ELb0ELi0ELi1ELi1ENSC_IJLi1ELi16ELi1ELi8EEEELi4ELNS_26BlockGemmPipelineSchedulerE1ELNS_24BlockGemmPipelineVersionE1EDF16bDF16bLb0ELb1ELb0ELi0ELb0EEELb1ELNS_25InMemoryDataOperationEnumE0ELi2ELNS_10TailNumberE10EEEvNT_8ArgumentE
; %bb.0:
	s_endpgm
	.section	.rodata,"a",@progbits
	.p2align	6, 0x0
	.amdhsa_kernel _ZN2ck27kernel_gemm_xdl_cshuffle_v3INS_28GridwiseGemm_xdl_cshuffle_v3INS_13tensor_layout4gemm8RowMajorENS3_11ColumnMajorES4_DF16bNS_7pk_i4_tEfDF16bDF16bNS_16tensor_operation12element_wise11PassThroughES9_S9_LNS7_6device18GemmSpecializationE0ELi128ELi16ELi64ELi128ELi8ELi32ELi16ELi16ELi1ELi2ENS_8SequenceIJLi16ELi8ELi1EEEENSC_IJLi1ELi0ELi2EEEESE_Li2ELi8ELi8ELb0ELi0ENSC_IJLi4ELi32ELi1EEEESE_SE_Li2ELi32ELi32ELb0ELi0ELi1ELi1ENSC_IJLi1ELi16ELi1ELi8EEEELi4ELNS_26BlockGemmPipelineSchedulerE1ELNS_24BlockGemmPipelineVersionE1EDF16bDF16bLb0ELb1ELb0ELi0ELb0EEELb1ELNS_25InMemoryDataOperationEnumE0ELi2ELNS_10TailNumberE10EEEvNT_8ArgumentE
		.amdhsa_group_segment_fixed_size 0
		.amdhsa_private_segment_fixed_size 0
		.amdhsa_kernarg_size 112
		.amdhsa_user_sgpr_count 2
		.amdhsa_user_sgpr_dispatch_ptr 0
		.amdhsa_user_sgpr_queue_ptr 0
		.amdhsa_user_sgpr_kernarg_segment_ptr 1
		.amdhsa_user_sgpr_dispatch_id 0
		.amdhsa_user_sgpr_private_segment_size 0
		.amdhsa_wavefront_size32 1
		.amdhsa_uses_dynamic_stack 0
		.amdhsa_enable_private_segment 0
		.amdhsa_system_sgpr_workgroup_id_x 1
		.amdhsa_system_sgpr_workgroup_id_y 0
		.amdhsa_system_sgpr_workgroup_id_z 0
		.amdhsa_system_sgpr_workgroup_info 0
		.amdhsa_system_vgpr_workitem_id 0
		.amdhsa_next_free_vgpr 1
		.amdhsa_next_free_sgpr 1
		.amdhsa_reserve_vcc 0
		.amdhsa_float_round_mode_32 0
		.amdhsa_float_round_mode_16_64 0
		.amdhsa_float_denorm_mode_32 3
		.amdhsa_float_denorm_mode_16_64 3
		.amdhsa_fp16_overflow 0
		.amdhsa_workgroup_processor_mode 1
		.amdhsa_memory_ordered 1
		.amdhsa_forward_progress 1
		.amdhsa_inst_pref_size 1
		.amdhsa_round_robin_scheduling 0
		.amdhsa_exception_fp_ieee_invalid_op 0
		.amdhsa_exception_fp_denorm_src 0
		.amdhsa_exception_fp_ieee_div_zero 0
		.amdhsa_exception_fp_ieee_overflow 0
		.amdhsa_exception_fp_ieee_underflow 0
		.amdhsa_exception_fp_ieee_inexact 0
		.amdhsa_exception_int_div_zero 0
	.end_amdhsa_kernel
	.section	.text._ZN2ck27kernel_gemm_xdl_cshuffle_v3INS_28GridwiseGemm_xdl_cshuffle_v3INS_13tensor_layout4gemm8RowMajorENS3_11ColumnMajorES4_DF16bNS_7pk_i4_tEfDF16bDF16bNS_16tensor_operation12element_wise11PassThroughES9_S9_LNS7_6device18GemmSpecializationE0ELi128ELi16ELi64ELi128ELi8ELi32ELi16ELi16ELi1ELi2ENS_8SequenceIJLi16ELi8ELi1EEEENSC_IJLi1ELi0ELi2EEEESE_Li2ELi8ELi8ELb0ELi0ENSC_IJLi4ELi32ELi1EEEESE_SE_Li2ELi32ELi32ELb0ELi0ELi1ELi1ENSC_IJLi1ELi16ELi1ELi8EEEELi4ELNS_26BlockGemmPipelineSchedulerE1ELNS_24BlockGemmPipelineVersionE1EDF16bDF16bLb0ELb1ELb0ELi0ELb0EEELb1ELNS_25InMemoryDataOperationEnumE0ELi2ELNS_10TailNumberE10EEEvNT_8ArgumentE,"axG",@progbits,_ZN2ck27kernel_gemm_xdl_cshuffle_v3INS_28GridwiseGemm_xdl_cshuffle_v3INS_13tensor_layout4gemm8RowMajorENS3_11ColumnMajorES4_DF16bNS_7pk_i4_tEfDF16bDF16bNS_16tensor_operation12element_wise11PassThroughES9_S9_LNS7_6device18GemmSpecializationE0ELi128ELi16ELi64ELi128ELi8ELi32ELi16ELi16ELi1ELi2ENS_8SequenceIJLi16ELi8ELi1EEEENSC_IJLi1ELi0ELi2EEEESE_Li2ELi8ELi8ELb0ELi0ENSC_IJLi4ELi32ELi1EEEESE_SE_Li2ELi32ELi32ELb0ELi0ELi1ELi1ENSC_IJLi1ELi16ELi1ELi8EEEELi4ELNS_26BlockGemmPipelineSchedulerE1ELNS_24BlockGemmPipelineVersionE1EDF16bDF16bLb0ELb1ELb0ELi0ELb0EEELb1ELNS_25InMemoryDataOperationEnumE0ELi2ELNS_10TailNumberE10EEEvNT_8ArgumentE,comdat
.Lfunc_end4:
	.size	_ZN2ck27kernel_gemm_xdl_cshuffle_v3INS_28GridwiseGemm_xdl_cshuffle_v3INS_13tensor_layout4gemm8RowMajorENS3_11ColumnMajorES4_DF16bNS_7pk_i4_tEfDF16bDF16bNS_16tensor_operation12element_wise11PassThroughES9_S9_LNS7_6device18GemmSpecializationE0ELi128ELi16ELi64ELi128ELi8ELi32ELi16ELi16ELi1ELi2ENS_8SequenceIJLi16ELi8ELi1EEEENSC_IJLi1ELi0ELi2EEEESE_Li2ELi8ELi8ELb0ELi0ENSC_IJLi4ELi32ELi1EEEESE_SE_Li2ELi32ELi32ELb0ELi0ELi1ELi1ENSC_IJLi1ELi16ELi1ELi8EEEELi4ELNS_26BlockGemmPipelineSchedulerE1ELNS_24BlockGemmPipelineVersionE1EDF16bDF16bLb0ELb1ELb0ELi0ELb0EEELb1ELNS_25InMemoryDataOperationEnumE0ELi2ELNS_10TailNumberE10EEEvNT_8ArgumentE, .Lfunc_end4-_ZN2ck27kernel_gemm_xdl_cshuffle_v3INS_28GridwiseGemm_xdl_cshuffle_v3INS_13tensor_layout4gemm8RowMajorENS3_11ColumnMajorES4_DF16bNS_7pk_i4_tEfDF16bDF16bNS_16tensor_operation12element_wise11PassThroughES9_S9_LNS7_6device18GemmSpecializationE0ELi128ELi16ELi64ELi128ELi8ELi32ELi16ELi16ELi1ELi2ENS_8SequenceIJLi16ELi8ELi1EEEENSC_IJLi1ELi0ELi2EEEESE_Li2ELi8ELi8ELb0ELi0ENSC_IJLi4ELi32ELi1EEEESE_SE_Li2ELi32ELi32ELb0ELi0ELi1ELi1ENSC_IJLi1ELi16ELi1ELi8EEEELi4ELNS_26BlockGemmPipelineSchedulerE1ELNS_24BlockGemmPipelineVersionE1EDF16bDF16bLb0ELb1ELb0ELi0ELb0EEELb1ELNS_25InMemoryDataOperationEnumE0ELi2ELNS_10TailNumberE10EEEvNT_8ArgumentE
                                        ; -- End function
	.set _ZN2ck27kernel_gemm_xdl_cshuffle_v3INS_28GridwiseGemm_xdl_cshuffle_v3INS_13tensor_layout4gemm8RowMajorENS3_11ColumnMajorES4_DF16bNS_7pk_i4_tEfDF16bDF16bNS_16tensor_operation12element_wise11PassThroughES9_S9_LNS7_6device18GemmSpecializationE0ELi128ELi16ELi64ELi128ELi8ELi32ELi16ELi16ELi1ELi2ENS_8SequenceIJLi16ELi8ELi1EEEENSC_IJLi1ELi0ELi2EEEESE_Li2ELi8ELi8ELb0ELi0ENSC_IJLi4ELi32ELi1EEEESE_SE_Li2ELi32ELi32ELb0ELi0ELi1ELi1ENSC_IJLi1ELi16ELi1ELi8EEEELi4ELNS_26BlockGemmPipelineSchedulerE1ELNS_24BlockGemmPipelineVersionE1EDF16bDF16bLb0ELb1ELb0ELi0ELb0EEELb1ELNS_25InMemoryDataOperationEnumE0ELi2ELNS_10TailNumberE10EEEvNT_8ArgumentE.num_vgpr, 0
	.set _ZN2ck27kernel_gemm_xdl_cshuffle_v3INS_28GridwiseGemm_xdl_cshuffle_v3INS_13tensor_layout4gemm8RowMajorENS3_11ColumnMajorES4_DF16bNS_7pk_i4_tEfDF16bDF16bNS_16tensor_operation12element_wise11PassThroughES9_S9_LNS7_6device18GemmSpecializationE0ELi128ELi16ELi64ELi128ELi8ELi32ELi16ELi16ELi1ELi2ENS_8SequenceIJLi16ELi8ELi1EEEENSC_IJLi1ELi0ELi2EEEESE_Li2ELi8ELi8ELb0ELi0ENSC_IJLi4ELi32ELi1EEEESE_SE_Li2ELi32ELi32ELb0ELi0ELi1ELi1ENSC_IJLi1ELi16ELi1ELi8EEEELi4ELNS_26BlockGemmPipelineSchedulerE1ELNS_24BlockGemmPipelineVersionE1EDF16bDF16bLb0ELb1ELb0ELi0ELb0EEELb1ELNS_25InMemoryDataOperationEnumE0ELi2ELNS_10TailNumberE10EEEvNT_8ArgumentE.num_agpr, 0
	.set _ZN2ck27kernel_gemm_xdl_cshuffle_v3INS_28GridwiseGemm_xdl_cshuffle_v3INS_13tensor_layout4gemm8RowMajorENS3_11ColumnMajorES4_DF16bNS_7pk_i4_tEfDF16bDF16bNS_16tensor_operation12element_wise11PassThroughES9_S9_LNS7_6device18GemmSpecializationE0ELi128ELi16ELi64ELi128ELi8ELi32ELi16ELi16ELi1ELi2ENS_8SequenceIJLi16ELi8ELi1EEEENSC_IJLi1ELi0ELi2EEEESE_Li2ELi8ELi8ELb0ELi0ENSC_IJLi4ELi32ELi1EEEESE_SE_Li2ELi32ELi32ELb0ELi0ELi1ELi1ENSC_IJLi1ELi16ELi1ELi8EEEELi4ELNS_26BlockGemmPipelineSchedulerE1ELNS_24BlockGemmPipelineVersionE1EDF16bDF16bLb0ELb1ELb0ELi0ELb0EEELb1ELNS_25InMemoryDataOperationEnumE0ELi2ELNS_10TailNumberE10EEEvNT_8ArgumentE.numbered_sgpr, 0
	.set _ZN2ck27kernel_gemm_xdl_cshuffle_v3INS_28GridwiseGemm_xdl_cshuffle_v3INS_13tensor_layout4gemm8RowMajorENS3_11ColumnMajorES4_DF16bNS_7pk_i4_tEfDF16bDF16bNS_16tensor_operation12element_wise11PassThroughES9_S9_LNS7_6device18GemmSpecializationE0ELi128ELi16ELi64ELi128ELi8ELi32ELi16ELi16ELi1ELi2ENS_8SequenceIJLi16ELi8ELi1EEEENSC_IJLi1ELi0ELi2EEEESE_Li2ELi8ELi8ELb0ELi0ENSC_IJLi4ELi32ELi1EEEESE_SE_Li2ELi32ELi32ELb0ELi0ELi1ELi1ENSC_IJLi1ELi16ELi1ELi8EEEELi4ELNS_26BlockGemmPipelineSchedulerE1ELNS_24BlockGemmPipelineVersionE1EDF16bDF16bLb0ELb1ELb0ELi0ELb0EEELb1ELNS_25InMemoryDataOperationEnumE0ELi2ELNS_10TailNumberE10EEEvNT_8ArgumentE.num_named_barrier, 0
	.set _ZN2ck27kernel_gemm_xdl_cshuffle_v3INS_28GridwiseGemm_xdl_cshuffle_v3INS_13tensor_layout4gemm8RowMajorENS3_11ColumnMajorES4_DF16bNS_7pk_i4_tEfDF16bDF16bNS_16tensor_operation12element_wise11PassThroughES9_S9_LNS7_6device18GemmSpecializationE0ELi128ELi16ELi64ELi128ELi8ELi32ELi16ELi16ELi1ELi2ENS_8SequenceIJLi16ELi8ELi1EEEENSC_IJLi1ELi0ELi2EEEESE_Li2ELi8ELi8ELb0ELi0ENSC_IJLi4ELi32ELi1EEEESE_SE_Li2ELi32ELi32ELb0ELi0ELi1ELi1ENSC_IJLi1ELi16ELi1ELi8EEEELi4ELNS_26BlockGemmPipelineSchedulerE1ELNS_24BlockGemmPipelineVersionE1EDF16bDF16bLb0ELb1ELb0ELi0ELb0EEELb1ELNS_25InMemoryDataOperationEnumE0ELi2ELNS_10TailNumberE10EEEvNT_8ArgumentE.private_seg_size, 0
	.set _ZN2ck27kernel_gemm_xdl_cshuffle_v3INS_28GridwiseGemm_xdl_cshuffle_v3INS_13tensor_layout4gemm8RowMajorENS3_11ColumnMajorES4_DF16bNS_7pk_i4_tEfDF16bDF16bNS_16tensor_operation12element_wise11PassThroughES9_S9_LNS7_6device18GemmSpecializationE0ELi128ELi16ELi64ELi128ELi8ELi32ELi16ELi16ELi1ELi2ENS_8SequenceIJLi16ELi8ELi1EEEENSC_IJLi1ELi0ELi2EEEESE_Li2ELi8ELi8ELb0ELi0ENSC_IJLi4ELi32ELi1EEEESE_SE_Li2ELi32ELi32ELb0ELi0ELi1ELi1ENSC_IJLi1ELi16ELi1ELi8EEEELi4ELNS_26BlockGemmPipelineSchedulerE1ELNS_24BlockGemmPipelineVersionE1EDF16bDF16bLb0ELb1ELb0ELi0ELb0EEELb1ELNS_25InMemoryDataOperationEnumE0ELi2ELNS_10TailNumberE10EEEvNT_8ArgumentE.uses_vcc, 0
	.set _ZN2ck27kernel_gemm_xdl_cshuffle_v3INS_28GridwiseGemm_xdl_cshuffle_v3INS_13tensor_layout4gemm8RowMajorENS3_11ColumnMajorES4_DF16bNS_7pk_i4_tEfDF16bDF16bNS_16tensor_operation12element_wise11PassThroughES9_S9_LNS7_6device18GemmSpecializationE0ELi128ELi16ELi64ELi128ELi8ELi32ELi16ELi16ELi1ELi2ENS_8SequenceIJLi16ELi8ELi1EEEENSC_IJLi1ELi0ELi2EEEESE_Li2ELi8ELi8ELb0ELi0ENSC_IJLi4ELi32ELi1EEEESE_SE_Li2ELi32ELi32ELb0ELi0ELi1ELi1ENSC_IJLi1ELi16ELi1ELi8EEEELi4ELNS_26BlockGemmPipelineSchedulerE1ELNS_24BlockGemmPipelineVersionE1EDF16bDF16bLb0ELb1ELb0ELi0ELb0EEELb1ELNS_25InMemoryDataOperationEnumE0ELi2ELNS_10TailNumberE10EEEvNT_8ArgumentE.uses_flat_scratch, 0
	.set _ZN2ck27kernel_gemm_xdl_cshuffle_v3INS_28GridwiseGemm_xdl_cshuffle_v3INS_13tensor_layout4gemm8RowMajorENS3_11ColumnMajorES4_DF16bNS_7pk_i4_tEfDF16bDF16bNS_16tensor_operation12element_wise11PassThroughES9_S9_LNS7_6device18GemmSpecializationE0ELi128ELi16ELi64ELi128ELi8ELi32ELi16ELi16ELi1ELi2ENS_8SequenceIJLi16ELi8ELi1EEEENSC_IJLi1ELi0ELi2EEEESE_Li2ELi8ELi8ELb0ELi0ENSC_IJLi4ELi32ELi1EEEESE_SE_Li2ELi32ELi32ELb0ELi0ELi1ELi1ENSC_IJLi1ELi16ELi1ELi8EEEELi4ELNS_26BlockGemmPipelineSchedulerE1ELNS_24BlockGemmPipelineVersionE1EDF16bDF16bLb0ELb1ELb0ELi0ELb0EEELb1ELNS_25InMemoryDataOperationEnumE0ELi2ELNS_10TailNumberE10EEEvNT_8ArgumentE.has_dyn_sized_stack, 0
	.set _ZN2ck27kernel_gemm_xdl_cshuffle_v3INS_28GridwiseGemm_xdl_cshuffle_v3INS_13tensor_layout4gemm8RowMajorENS3_11ColumnMajorES4_DF16bNS_7pk_i4_tEfDF16bDF16bNS_16tensor_operation12element_wise11PassThroughES9_S9_LNS7_6device18GemmSpecializationE0ELi128ELi16ELi64ELi128ELi8ELi32ELi16ELi16ELi1ELi2ENS_8SequenceIJLi16ELi8ELi1EEEENSC_IJLi1ELi0ELi2EEEESE_Li2ELi8ELi8ELb0ELi0ENSC_IJLi4ELi32ELi1EEEESE_SE_Li2ELi32ELi32ELb0ELi0ELi1ELi1ENSC_IJLi1ELi16ELi1ELi8EEEELi4ELNS_26BlockGemmPipelineSchedulerE1ELNS_24BlockGemmPipelineVersionE1EDF16bDF16bLb0ELb1ELb0ELi0ELb0EEELb1ELNS_25InMemoryDataOperationEnumE0ELi2ELNS_10TailNumberE10EEEvNT_8ArgumentE.has_recursion, 0
	.set _ZN2ck27kernel_gemm_xdl_cshuffle_v3INS_28GridwiseGemm_xdl_cshuffle_v3INS_13tensor_layout4gemm8RowMajorENS3_11ColumnMajorES4_DF16bNS_7pk_i4_tEfDF16bDF16bNS_16tensor_operation12element_wise11PassThroughES9_S9_LNS7_6device18GemmSpecializationE0ELi128ELi16ELi64ELi128ELi8ELi32ELi16ELi16ELi1ELi2ENS_8SequenceIJLi16ELi8ELi1EEEENSC_IJLi1ELi0ELi2EEEESE_Li2ELi8ELi8ELb0ELi0ENSC_IJLi4ELi32ELi1EEEESE_SE_Li2ELi32ELi32ELb0ELi0ELi1ELi1ENSC_IJLi1ELi16ELi1ELi8EEEELi4ELNS_26BlockGemmPipelineSchedulerE1ELNS_24BlockGemmPipelineVersionE1EDF16bDF16bLb0ELb1ELb0ELi0ELb0EEELb1ELNS_25InMemoryDataOperationEnumE0ELi2ELNS_10TailNumberE10EEEvNT_8ArgumentE.has_indirect_call, 0
	.section	.AMDGPU.csdata,"",@progbits
; Kernel info:
; codeLenInByte = 4
; TotalNumSgprs: 0
; NumVgprs: 0
; ScratchSize: 0
; MemoryBound: 0
; FloatMode: 240
; IeeeMode: 1
; LDSByteSize: 0 bytes/workgroup (compile time only)
; SGPRBlocks: 0
; VGPRBlocks: 0
; NumSGPRsForWavesPerEU: 1
; NumVGPRsForWavesPerEU: 1
; Occupancy: 16
; WaveLimiterHint : 0
; COMPUTE_PGM_RSRC2:SCRATCH_EN: 0
; COMPUTE_PGM_RSRC2:USER_SGPR: 2
; COMPUTE_PGM_RSRC2:TRAP_HANDLER: 0
; COMPUTE_PGM_RSRC2:TGID_X_EN: 1
; COMPUTE_PGM_RSRC2:TGID_Y_EN: 0
; COMPUTE_PGM_RSRC2:TGID_Z_EN: 0
; COMPUTE_PGM_RSRC2:TIDIG_COMP_CNT: 0
	.section	.text._ZN2ck27kernel_gemm_xdl_cshuffle_v3INS_28GridwiseGemm_xdl_cshuffle_v3INS_13tensor_layout4gemm8RowMajorENS3_11ColumnMajorES4_DF16bNS_7pk_i4_tEfDF16bDF16bNS_16tensor_operation12element_wise11PassThroughES9_S9_LNS7_6device18GemmSpecializationE0ELi128ELi16ELi64ELi128ELi8ELi32ELi16ELi16ELi1ELi1ENS_8SequenceIJLi16ELi8ELi1EEEENSC_IJLi1ELi0ELi2EEEESE_Li2ELi8ELi8ELb0ELi0ENSC_IJLi4ELi32ELi1EEEESE_SE_Li2ELi32ELi32ELb0ELi0ELi1ELi1ENSC_IJLi1ELi16ELi1ELi8EEEELi4ELNS_26BlockGemmPipelineSchedulerE1ELNS_24BlockGemmPipelineVersionE1EDF16bDF16bLb0ELb1ELb0ELi0ELb0EEELb1ELNS_25InMemoryDataOperationEnumE1ELi2ELNS_10TailNumberE2EEEvNT_8ArgumentE,"axG",@progbits,_ZN2ck27kernel_gemm_xdl_cshuffle_v3INS_28GridwiseGemm_xdl_cshuffle_v3INS_13tensor_layout4gemm8RowMajorENS3_11ColumnMajorES4_DF16bNS_7pk_i4_tEfDF16bDF16bNS_16tensor_operation12element_wise11PassThroughES9_S9_LNS7_6device18GemmSpecializationE0ELi128ELi16ELi64ELi128ELi8ELi32ELi16ELi16ELi1ELi1ENS_8SequenceIJLi16ELi8ELi1EEEENSC_IJLi1ELi0ELi2EEEESE_Li2ELi8ELi8ELb0ELi0ENSC_IJLi4ELi32ELi1EEEESE_SE_Li2ELi32ELi32ELb0ELi0ELi1ELi1ENSC_IJLi1ELi16ELi1ELi8EEEELi4ELNS_26BlockGemmPipelineSchedulerE1ELNS_24BlockGemmPipelineVersionE1EDF16bDF16bLb0ELb1ELb0ELi0ELb0EEELb1ELNS_25InMemoryDataOperationEnumE1ELi2ELNS_10TailNumberE2EEEvNT_8ArgumentE,comdat
	.protected	_ZN2ck27kernel_gemm_xdl_cshuffle_v3INS_28GridwiseGemm_xdl_cshuffle_v3INS_13tensor_layout4gemm8RowMajorENS3_11ColumnMajorES4_DF16bNS_7pk_i4_tEfDF16bDF16bNS_16tensor_operation12element_wise11PassThroughES9_S9_LNS7_6device18GemmSpecializationE0ELi128ELi16ELi64ELi128ELi8ELi32ELi16ELi16ELi1ELi1ENS_8SequenceIJLi16ELi8ELi1EEEENSC_IJLi1ELi0ELi2EEEESE_Li2ELi8ELi8ELb0ELi0ENSC_IJLi4ELi32ELi1EEEESE_SE_Li2ELi32ELi32ELb0ELi0ELi1ELi1ENSC_IJLi1ELi16ELi1ELi8EEEELi4ELNS_26BlockGemmPipelineSchedulerE1ELNS_24BlockGemmPipelineVersionE1EDF16bDF16bLb0ELb1ELb0ELi0ELb0EEELb1ELNS_25InMemoryDataOperationEnumE1ELi2ELNS_10TailNumberE2EEEvNT_8ArgumentE ; -- Begin function _ZN2ck27kernel_gemm_xdl_cshuffle_v3INS_28GridwiseGemm_xdl_cshuffle_v3INS_13tensor_layout4gemm8RowMajorENS3_11ColumnMajorES4_DF16bNS_7pk_i4_tEfDF16bDF16bNS_16tensor_operation12element_wise11PassThroughES9_S9_LNS7_6device18GemmSpecializationE0ELi128ELi16ELi64ELi128ELi8ELi32ELi16ELi16ELi1ELi1ENS_8SequenceIJLi16ELi8ELi1EEEENSC_IJLi1ELi0ELi2EEEESE_Li2ELi8ELi8ELb0ELi0ENSC_IJLi4ELi32ELi1EEEESE_SE_Li2ELi32ELi32ELb0ELi0ELi1ELi1ENSC_IJLi1ELi16ELi1ELi8EEEELi4ELNS_26BlockGemmPipelineSchedulerE1ELNS_24BlockGemmPipelineVersionE1EDF16bDF16bLb0ELb1ELb0ELi0ELb0EEELb1ELNS_25InMemoryDataOperationEnumE1ELi2ELNS_10TailNumberE2EEEvNT_8ArgumentE
	.globl	_ZN2ck27kernel_gemm_xdl_cshuffle_v3INS_28GridwiseGemm_xdl_cshuffle_v3INS_13tensor_layout4gemm8RowMajorENS3_11ColumnMajorES4_DF16bNS_7pk_i4_tEfDF16bDF16bNS_16tensor_operation12element_wise11PassThroughES9_S9_LNS7_6device18GemmSpecializationE0ELi128ELi16ELi64ELi128ELi8ELi32ELi16ELi16ELi1ELi1ENS_8SequenceIJLi16ELi8ELi1EEEENSC_IJLi1ELi0ELi2EEEESE_Li2ELi8ELi8ELb0ELi0ENSC_IJLi4ELi32ELi1EEEESE_SE_Li2ELi32ELi32ELb0ELi0ELi1ELi1ENSC_IJLi1ELi16ELi1ELi8EEEELi4ELNS_26BlockGemmPipelineSchedulerE1ELNS_24BlockGemmPipelineVersionE1EDF16bDF16bLb0ELb1ELb0ELi0ELb0EEELb1ELNS_25InMemoryDataOperationEnumE1ELi2ELNS_10TailNumberE2EEEvNT_8ArgumentE
	.p2align	8
	.type	_ZN2ck27kernel_gemm_xdl_cshuffle_v3INS_28GridwiseGemm_xdl_cshuffle_v3INS_13tensor_layout4gemm8RowMajorENS3_11ColumnMajorES4_DF16bNS_7pk_i4_tEfDF16bDF16bNS_16tensor_operation12element_wise11PassThroughES9_S9_LNS7_6device18GemmSpecializationE0ELi128ELi16ELi64ELi128ELi8ELi32ELi16ELi16ELi1ELi1ENS_8SequenceIJLi16ELi8ELi1EEEENSC_IJLi1ELi0ELi2EEEESE_Li2ELi8ELi8ELb0ELi0ENSC_IJLi4ELi32ELi1EEEESE_SE_Li2ELi32ELi32ELb0ELi0ELi1ELi1ENSC_IJLi1ELi16ELi1ELi8EEEELi4ELNS_26BlockGemmPipelineSchedulerE1ELNS_24BlockGemmPipelineVersionE1EDF16bDF16bLb0ELb1ELb0ELi0ELb0EEELb1ELNS_25InMemoryDataOperationEnumE1ELi2ELNS_10TailNumberE2EEEvNT_8ArgumentE,@function
_ZN2ck27kernel_gemm_xdl_cshuffle_v3INS_28GridwiseGemm_xdl_cshuffle_v3INS_13tensor_layout4gemm8RowMajorENS3_11ColumnMajorES4_DF16bNS_7pk_i4_tEfDF16bDF16bNS_16tensor_operation12element_wise11PassThroughES9_S9_LNS7_6device18GemmSpecializationE0ELi128ELi16ELi64ELi128ELi8ELi32ELi16ELi16ELi1ELi1ENS_8SequenceIJLi16ELi8ELi1EEEENSC_IJLi1ELi0ELi2EEEESE_Li2ELi8ELi8ELb0ELi0ENSC_IJLi4ELi32ELi1EEEESE_SE_Li2ELi32ELi32ELb0ELi0ELi1ELi1ENSC_IJLi1ELi16ELi1ELi8EEEELi4ELNS_26BlockGemmPipelineSchedulerE1ELNS_24BlockGemmPipelineVersionE1EDF16bDF16bLb0ELb1ELb0ELi0ELb0EEELb1ELNS_25InMemoryDataOperationEnumE1ELi2ELNS_10TailNumberE2EEEvNT_8ArgumentE: ; @_ZN2ck27kernel_gemm_xdl_cshuffle_v3INS_28GridwiseGemm_xdl_cshuffle_v3INS_13tensor_layout4gemm8RowMajorENS3_11ColumnMajorES4_DF16bNS_7pk_i4_tEfDF16bDF16bNS_16tensor_operation12element_wise11PassThroughES9_S9_LNS7_6device18GemmSpecializationE0ELi128ELi16ELi64ELi128ELi8ELi32ELi16ELi16ELi1ELi1ENS_8SequenceIJLi16ELi8ELi1EEEENSC_IJLi1ELi0ELi2EEEESE_Li2ELi8ELi8ELb0ELi0ENSC_IJLi4ELi32ELi1EEEESE_SE_Li2ELi32ELi32ELb0ELi0ELi1ELi1ENSC_IJLi1ELi16ELi1ELi8EEEELi4ELNS_26BlockGemmPipelineSchedulerE1ELNS_24BlockGemmPipelineVersionE1EDF16bDF16bLb0ELb1ELb0ELi0ELb0EEELb1ELNS_25InMemoryDataOperationEnumE1ELi2ELNS_10TailNumberE2EEEvNT_8ArgumentE
; %bb.0:
	s_clause 0x4
	s_load_b96 s[12:14], s[0:1], 0x20
	s_load_b96 s[16:18], s[0:1], 0x60
	s_load_b128 s[4:7], s[0:1], 0x10
	s_load_b32 s22, s[0:1], 0x3c
	s_load_b128 s[8:11], s[0:1], 0x50
	s_lshr_b32 s2, ttmp7, 16
	s_mov_b32 s23, ttmp9
	s_wait_kmcnt 0x0
	s_cmp_gt_i32 s14, 1
	s_cselect_b32 s3, -1, 0
	s_bitcmp1_b32 s18, 0
	s_mov_b64 s[18:19], 0
	s_cselect_b32 s15, -1, 0
	s_delay_alu instid0(SALU_CYCLE_1) | instskip(NEXT) | instid1(SALU_CYCLE_1)
	s_and_b32 s3, s3, s15
	s_and_not1_b32 vcc_lo, exec_lo, s3
	s_cbranch_vccnz .LBB5_2
; %bb.1:
	s_mul_i32 s3, s4, s2
	s_delay_alu instid0(SALU_CYCLE_1) | instskip(NEXT) | instid1(SALU_CYCLE_1)
	s_mul_i32 s18, s3, s5
	s_ashr_i32 s19, s18, 31
.LBB5_2:
	s_load_b32 s3, s[0:1], 0x34
	s_add_co_i32 s0, s4, -1
	s_mov_b32 s21, 0
	s_cmp_lt_u32 s0, 16
	s_cbranch_scc1 .LBB5_6
; %bb.3:
	s_add_co_i32 s0, s5, -1
	s_delay_alu instid0(SALU_CYCLE_1)
	s_cmp_lt_u32 s0, 64
	s_mov_b32 s0, 0
	s_cbranch_scc1 .LBB5_10
; %bb.4:
	s_add_co_i32 s0, s4, 15
	s_add_co_i32 s1, s5, 63
	s_ashr_i32 s15, s0, 31
	s_ashr_i32 s20, s1, 31
	s_lshr_b32 s15, s15, 28
	s_lshr_b32 s20, s20, 26
	s_add_co_i32 s0, s0, s15
	s_add_co_i32 s15, s1, s20
	s_ashr_i32 s1, s0, 4
	s_ashr_i32 s0, s15, 6
	;; [unrolled: 1-line block ×3, first 2 shown]
	s_mul_i32 s15, s0, s1
	s_delay_alu instid0(SALU_CYCLE_1) | instskip(NEXT) | instid1(SALU_CYCLE_1)
	s_add_co_i32 s20, s15, 7
	s_ashr_i32 s24, s20, 31
	s_delay_alu instid0(SALU_CYCLE_1) | instskip(NEXT) | instid1(SALU_CYCLE_1)
	s_lshr_b32 s24, s24, 29
	s_add_co_i32 s24, s20, s24
	s_lshr_b32 s20, s25, 29
	s_and_b32 s26, s24, -8
	s_add_co_i32 s25, s23, s20
	s_sub_co_i32 s20, s15, s26
	s_and_b32 s15, s25, -8
	s_add_co_i32 s20, s20, 8
	s_sub_co_i32 s23, s23, s15
	s_ashr_i32 s24, s24, 3
	s_cmp_gt_i32 s23, s20
	s_cbranch_scc1 .LBB5_7
; %bb.5:
	s_mul_i32 s15, s24, s23
	s_ashr_i32 s25, s25, 3
	s_cbranch_execz .LBB5_8
	s_branch .LBB5_9
.LBB5_6:
	s_mov_b32 s15, 0
	s_branch .LBB5_11
.LBB5_7:
                                        ; implicit-def: $sgpr15
	s_ashr_i32 s25, s25, 3
.LBB5_8:
	s_add_co_i32 s15, s24, -1
	s_delay_alu instid0(SALU_CYCLE_1) | instskip(NEXT) | instid1(SALU_CYCLE_1)
	s_mul_i32 s15, s15, s23
	s_add_co_i32 s15, s20, s15
.LBB5_9:
	s_abs_i32 s20, s0
	s_add_co_i32 s15, s15, s25
	s_cvt_f32_u32 s23, s20
	s_sub_co_i32 s24, 0, s20
	s_abs_i32 s25, s15
	s_delay_alu instid0(SALU_CYCLE_1) | instskip(NEXT) | instid1(TRANS32_DEP_1)
	v_rcp_iflag_f32_e32 v1, s23
	v_readfirstlane_b32 s23, v1
	s_mul_f32 s23, s23, 0x4f7ffffe
	s_wait_alu 0xfffe
	s_delay_alu instid0(SALU_CYCLE_2) | instskip(SKIP_1) | instid1(SALU_CYCLE_2)
	s_cvt_u32_f32 s23, s23
	s_wait_alu 0xfffe
	s_mul_i32 s24, s24, s23
	s_delay_alu instid0(SALU_CYCLE_1) | instskip(NEXT) | instid1(SALU_CYCLE_1)
	s_mul_hi_u32 s24, s23, s24
	s_add_co_i32 s23, s23, s24
	s_xor_b32 s24, s15, s0
	s_wait_alu 0xfffe
	s_mul_hi_u32 s23, s25, s23
	s_ashr_i32 s24, s24, 31
	s_wait_alu 0xfffe
	s_mul_i32 s26, s23, s20
	s_delay_alu instid0(SALU_CYCLE_1)
	s_sub_co_i32 s25, s25, s26
	s_add_co_i32 s26, s23, 1
	s_sub_co_i32 s27, s25, s20
	s_cmp_ge_u32 s25, s20
	s_cselect_b32 s23, s26, s23
	s_cselect_b32 s25, s27, s25
	s_wait_alu 0xfffe
	s_add_co_i32 s26, s23, 1
	s_cmp_ge_u32 s25, s20
	s_cselect_b32 s20, s26, s23
	s_lshr_b32 s23, s1, 30
	s_xor_b32 s20, s20, s24
	s_wait_alu 0xfffe
	s_add_co_i32 s23, s1, s23
	s_sub_co_i32 s20, s20, s24
	s_wait_alu 0xfffe
	s_and_b32 s23, s23, -4
	s_mul_i32 s24, s20, s0
	s_wait_alu 0xfffe
	s_sub_co_i32 s1, s1, s23
	s_sub_co_i32 s15, s15, s24
	s_cmp_ge_i32 s20, s23
	s_cselect_b32 s1, s1, 4
	s_ashr_i32 s25, s20, 31
	s_abs_i32 s23, s1
	s_lshr_b32 s25, s25, 30
	s_wait_alu 0xfffe
	s_cvt_f32_u32 s24, s23
	s_add_co_i32 s25, s20, s25
	s_sub_co_i32 s26, 0, s23
	s_and_b32 s25, s25, -4
	v_rcp_iflag_f32_e32 v1, s24
	s_sub_co_i32 s25, s20, s25
	s_wait_alu 0xfffe
	s_mul_i32 s0, s25, s0
	s_delay_alu instid0(SALU_CYCLE_1) | instskip(NEXT) | instid1(TRANS32_DEP_1)
	s_add_co_i32 s15, s0, s15
	v_readfirstlane_b32 s24, v1
	s_mul_f32 s24, s24, 0x4f7ffffe
	s_wait_alu 0xfffe
	s_delay_alu instid0(SALU_CYCLE_2) | instskip(SKIP_1) | instid1(SALU_CYCLE_2)
	s_cvt_u32_f32 s24, s24
	s_wait_alu 0xfffe
	s_mul_i32 s26, s26, s24
	s_delay_alu instid0(SALU_CYCLE_1)
	s_mul_hi_u32 s0, s24, s26
	s_abs_i32 s26, s15
	s_add_co_i32 s24, s24, s0
	s_wait_alu 0xfffe
	s_mul_hi_u32 s0, s26, s24
	s_xor_b32 s24, s15, s1
	s_mul_i32 s27, s0, s23
	s_wait_alu 0xfffe
	s_ashr_i32 s24, s24, 31
	s_sub_co_i32 s26, s26, s27
	s_add_co_i32 s27, s0, 1
	s_sub_co_i32 s28, s26, s23
	s_cmp_ge_u32 s26, s23
	s_cselect_b32 s0, s27, s0
	s_cselect_b32 s26, s28, s26
	s_add_co_i32 s27, s0, 1
	s_cmp_ge_u32 s26, s23
	s_cselect_b32 s0, s27, s0
	s_wait_alu 0xfffe
	s_xor_b32 s0, s0, s24
	s_delay_alu instid0(SALU_CYCLE_1) | instskip(NEXT) | instid1(SALU_CYCLE_1)
	s_sub_co_i32 s0, s0, s24
	s_mul_i32 s1, s0, s1
	s_delay_alu instid0(SALU_CYCLE_1) | instskip(NEXT) | instid1(SALU_CYCLE_1)
	s_sub_co_i32 s1, s15, s1
	s_add_co_i32 s1, s1, s20
	s_delay_alu instid0(SALU_CYCLE_1)
	s_sub_co_i32 s23, s1, s25
.LBB5_10:
	s_wait_alu 0xfffe
	s_mov_b32 s15, s23
	s_mov_b32 s23, s0
.LBB5_11:
	v_lshrrev_b32_e32 v103, 3, v0
	s_wait_kmcnt 0x0
	s_mul_i32 s0, s3, s2
	s_ashr_i32 s26, s12, 31
	s_mul_i32 s20, s0, s5
	s_ashr_i32 s1, s0, 31
	v_dual_mov_b32 v58, 3 :: v_dual_and_b32 v37, 14, v103
	s_lshr_b32 s20, s20, 1
	s_lshl_b64 s[24:25], s[0:1], 1
	s_add_nc_u64 s[0:1], s[10:11], s[20:21]
	s_lshr_b32 s10, s26, 25
	v_lshl_or_b32 v1, s15, 4, v37
	s_add_co_i32 s10, s12, s10
	s_add_co_i32 s11, s4, 0x7fffffff
	s_ashr_i32 s26, s10, 7
	s_add_co_i32 s10, s14, -1
	v_mul_lo_u32 v38, v1, s7
	s_mul_i32 s14, s10, s3
	s_lshl_b32 s12, s5, 7
	s_wait_alu 0xfffe
	s_sub_co_i32 s6, s6, s14
	v_lshrrev_b32_e32 v104, 1, v0
	v_and_b32_e32 v2, 3, v0
	v_and_b32_e32 v105, 15, v0
	s_cmp_lt_u32 s2, s10
	s_mov_b32 s20, s7
	s_wait_alu 0xfffe
	s_cselect_b32 s14, s3, s6
	s_lshl_b32 s6, s23, 6
	v_lshlrev_b32_e32 v3, 5, v2
	s_wait_alu 0xfffe
	v_and_or_b32 v1, v104, 62, s6
	v_lshl_add_u32 v4, v105, 3, v38
	s_mov_b32 s10, s21
	s_add_nc_u64 s[8:9], s[8:9], s[24:25]
	s_mul_u64 s[2:3], s[10:11], s[20:21]
	v_lshl_or_b32 v1, v1, 7, v3
	v_lshlrev_b32_e32 v3, 1, v4
	s_add_co_i32 s14, s14, s3
	v_add_lshl_u32 v9, v4, s7, 1
	s_wait_alu 0xfffe
	s_lshl_b32 s10, s14, 1
	s_mov_b32 s11, 0x31004000
	s_and_b32 s9, s9, 0xffff
	s_clause 0x1
	buffer_load_b128 v[5:8], v3, s[8:11], null offen
	buffer_load_b128 v[25:28], v9, s[8:11], null offen
	v_ashrrev_i32_e32 v3, 1, v1
	v_add_nc_u32_e32 v9, 0x80, v4
	v_add_nc_u32_e32 v1, s12, v1
	s_mul_i32 s2, s5, s26
	s_and_b32 s1, s1, 0xffff
	s_lshl_b32 s2, s2, 6
	s_mov_b32 s3, s11
	s_clause 0x1
	buffer_load_b128 v[29:32], v3, s[0:3], null offen
	buffer_load_b128 v[33:36], v3, s[0:3], null offen offset:64
	v_lshlrev_b32_e32 v3, 1, v9
	v_add_nc_u32_e32 v39, s12, v1
	v_add_lshl_u32 v9, v9, s7, 1
	v_add_nc_u32_e32 v10, 0x80, v1
	v_add_nc_u32_e32 v4, 0x100, v4
	s_clause 0x1
	buffer_load_b128 v[53:56], v3, s[8:11], null offen
	buffer_load_b128 v[49:52], v9, s[8:11], null offen
	v_ashrrev_i32_e32 v1, 1, v1
	v_add_nc_u32_e32 v3, 0x80, v39
	v_ashrrev_i32_e32 v9, 1, v10
	v_lshlrev_b32_e32 v10, 1, v4
	v_add_lshl_u32 v4, v4, s7, 1
	v_ashrrev_i32_e32 v11, 1, v39
	v_ashrrev_i32_e32 v3, 1, v3
	s_clause 0x1
	buffer_load_b128 v[41:44], v1, s[0:3], null offen
	buffer_load_b128 v[45:48], v9, s[0:3], null offen
	s_clause 0x1
	buffer_load_b128 v[21:24], v10, s[8:11], null offen
	buffer_load_b128 v[17:20], v4, s[8:11], null offen
	;; [unrolled: 3-line block ×3, first 2 shown]
	v_lshlrev_b32_e32 v4, 2, v0
	v_bfe_u32 v40, v0, 2, 3
	v_mov_b32_e32 v1, 0
	v_lshlrev_b32_e32 v57, 1, v2
	v_lshrrev_b32_e32 v3, 2, v0
	v_and_b32_e32 v60, 64, v4
	v_or_b32_e32 v107, 12, v2
	v_or_b32_e32 v108, 1, v103
	v_xor_b32_e32 v64, v57, v40
	v_or_b32_e32 v57, 1, v57
	v_lshrrev_b32_e32 v65, 3, v60
	v_lshrrev_b32_e32 v66, 5, v60
	;; [unrolled: 1-line block ×3, first 2 shown]
	v_or_b32_e32 v60, 32, v60
	v_mov_b32_e32 v2, v1
	v_and_or_b32 v61, v104, 48, v105
	v_xor_b32_e32 v40, v57, v40
	v_and_or_b32 v68, v0, 1, v68
	v_lshrrev_b32_e32 v72, 3, v60
	v_lshrrev_b32_e32 v60, 5, v60
	v_lshlrev_b32_e32 v59, 8, v3
	v_xor_b32_e32 v113, v37, v105
	v_lshlrev_b32_e32 v63, 7, v37
	v_lshrrev_b32_e32 v67, 1, v61
	v_sub_nc_u32_e32 v60, v60, v66
	v_bfe_u32 v61, v61, 1, 3
	v_or_b32_e32 v69, 1, v37
	v_sub_nc_u32_e32 v37, v108, v37
	v_sub_nc_u32_e32 v66, v40, v64
	;; [unrolled: 1-line block ×3, first 2 shown]
	v_lshl_add_u32 v60, v60, 1, v68
	v_lshlrev_b32_e32 v62, 8, v105
	v_lshl_or_b32 v110, v64, 5, v59
	v_xor_b32_e32 v59, v65, v105
	v_lshlrev_b32_e32 v67, 8, v67
	v_xor_b32_e32 v69, v69, v105
	v_or_b32_e32 v57, 1, v65
	v_or_b32_e32 v70, 2, v65
	;; [unrolled: 1-line block ×6, first 2 shown]
	v_lshlrev_b32_e32 v112, 7, v37
	v_add_nc_u32_e32 v114, -1, v37
	v_xor_b32_e32 v37, v61, v68
	v_lshlrev_b32_e32 v125, 5, v40
	v_xor_b32_e32 v40, v60, v61
	v_lshl_or_b32 v63, v113, 3, v63
	v_sub_nc_u32_e32 v76, v69, v113
	v_sub_nc_u32_e32 v69, v113, v69
	v_lshl_or_b32 v111, v59, 4, v62
	v_xor_b32_e32 v57, v57, v105
	v_xor_b32_e32 v62, v70, v105
	;; [unrolled: 1-line block ×7, first 2 shown]
	v_add_nc_u32_e32 v64, s7, v38
	v_lshlrev_b32_e32 v115, 1, v38
	v_lshl_or_b32 v38, v37, 5, v67
	v_lshlrev_b32_e32 v123, 5, v66
	v_sub_nc_u32_e32 v37, v40, v37
	v_lshlrev_b32_e32 v75, 1, v63
	s_ashr_i32 s14, s22, 31
	v_lshlrev_b32_e32 v67, 3, v76
	v_lshlrev_b32_e32 v68, 3, v69
	v_sub_nc_u32_e32 v57, v57, v59
	v_sub_nc_u32_e32 v62, v62, v59
	;; [unrolled: 1-line block ×7, first 2 shown]
	v_add_nc_u32_e32 v60, v123, v110
	v_lshl_add_u32 v37, v37, 5, v38
	v_lshl_add_u32 v69, v76, 4, v75
	s_wait_alu 0xfffe
	s_lshr_b32 s14, s14, 28
	v_lshrrev_b32_e32 v77, 1, v110
	s_wait_alu 0xfffe
	s_add_co_i32 s22, s22, s14
	v_lshlrev_b32_e32 v109, 4, v105
	v_dual_mov_b32 v3, v1 :: v_dual_mov_b32 v4, v1
	v_lshl_add_u32 v126, v64, 1, 0x500
	v_add3_u32 v59, v67, v63, v68
	v_lshl_add_u32 v116, v57, 4, v111
	v_lshl_add_u32 v117, v62, 4, v111
	;; [unrolled: 1-line block ×7, first 2 shown]
	v_lshrrev_b32_e32 v124, 1, v38
	v_add_nc_u32_e32 v57, s12, v39
	v_ashrrev_i32_e32 v38, 1, v60
	v_ashrrev_i32_e32 v106, 1, v37
	s_wait_alu 0xfffe
	s_ashr_i32 s14, s22, 4
	s_wait_loadcnt 0xb
	ds_store_b128 v75, v[5:8]
	s_wait_loadcnt 0xa
	ds_store_b128 v69, v[25:28] offset:256
	s_wait_loadcnt 0x9
	ds_store_b128 v77, v[29:32] offset:4096
	v_dual_mov_b32 v5, v1 :: v_dual_mov_b32 v6, v1
	v_dual_mov_b32 v7, v1 :: v_dual_mov_b32 v8, v1
	s_wait_alu 0xfffe
	s_add_co_i32 s7, s14, -3
	s_wait_loadcnt 0x8
	ds_store_b128 v38, v[33:36] offset:4096
.LBB5_12:                               ; =>This Inner Loop Header: Depth=1
	s_wait_dscnt 0x0
	s_barrier_signal -1
	s_barrier_wait -1
	ds_load_b128 v[33:36], v124 offset:4096
	ds_load_b128 v[37:40], v111
	ds_load_b128 v[60:63], v116
	;; [unrolled: 1-line block ×8, first 2 shown]
	ds_load_b128 v[80:83], v106 offset:4096
	s_wait_dscnt 0x9
	v_and_or_b32 v84, v33, 15, 0x4b000000
	v_lshrrev_b32_e32 v85, 4, v33
	v_lshrrev_b32_e32 v86, 8, v33
	;; [unrolled: 1-line block ×3, first 2 shown]
	v_ashrrev_i32_e32 v33, 16, v33
	v_lshrrev_b32_e32 v88, 4, v34
	v_and_or_b32 v85, v85, 15, 0x4b000000
	v_and_or_b32 v86, v86, 15, 0x4b000000
	;; [unrolled: 1-line block ×3, first 2 shown]
	v_lshrrev_b32_e32 v91, 4, v33
	s_delay_alu instid0(VALU_DEP_4) | instskip(NEXT) | instid1(VALU_DEP_3)
	v_dual_add_f32 v84, 0xcb000008, v84 :: v_dual_add_f32 v85, 0xcb000008, v85
	v_dual_add_f32 v86, 0xcb000008, v86 :: v_dual_add_f32 v87, 0xcb000008, v87
	s_delay_alu instid0(VALU_DEP_3) | instskip(SKIP_1) | instid1(VALU_DEP_4)
	v_and_or_b32 v91, v91, 15, 0x4b000000
	v_and_or_b32 v92, v33, 15, 0x4b000000
	v_lshrrev_b32_e32 v85, 16, v85
	v_lshrrev_b32_e32 v89, 8, v34
	v_lshrrev_b32_e32 v87, 16, v87
	s_delay_alu instid0(VALU_DEP_4) | instskip(SKIP_2) | instid1(VALU_DEP_4)
	v_dual_add_f32 v91, 0xcb000008, v91 :: v_dual_add_f32 v92, 0xcb000008, v92
	v_lshrrev_b32_e32 v90, 12, v34
	v_and_or_b32 v84, 0xffff0000, v84, v85
	v_and_or_b32 v85, 0xffff0000, v86, v87
	s_delay_alu instid0(VALU_DEP_4)
	v_lshrrev_b32_e32 v91, 16, v91
	v_and_or_b32 v87, v34, 15, 0x4b000000
	v_ashrrev_i32_e32 v34, 16, v34
	v_and_or_b32 v88, v88, 15, 0x4b000000
	v_lshrrev_b32_e32 v93, 8, v33
	v_and_or_b32 v86, 0xffff0000, v92, v91
	v_lshrrev_b32_e32 v33, 12, v33
	v_lshrrev_b32_e32 v92, 12, v34
	v_and_or_b32 v90, v90, 15, 0x4b000000
	v_and_or_b32 v93, v93, 15, 0x4b000000
	v_lshrrev_b32_e32 v94, 8, v34
	v_and_or_b32 v33, v33, 15, 0x4b000000
	v_and_or_b32 v92, v92, 15, 0x4b000000
	v_add_f32_e32 v91, 0xcb000008, v87
	v_add_f32_e32 v87, 0xcb000008, v88
	v_lshrrev_b32_e32 v88, 4, v34
	v_and_or_b32 v34, v34, 15, 0x4b000000
	v_dual_add_f32 v33, 0xcb000008, v33 :: v_dual_add_f32 v90, 0xcb000008, v90
	v_and_or_b32 v89, v89, 15, 0x4b000000
	s_delay_alu instid0(VALU_DEP_4)
	v_and_or_b32 v88, v88, 15, 0x4b000000
	v_dual_add_f32 v93, 0xcb000008, v93 :: v_dual_add_f32 v92, 0xcb000008, v92
	v_add_f32_e32 v34, 0xcb000008, v34
	v_lshrrev_b32_e32 v95, 16, v87
	v_and_or_b32 v87, v94, 15, 0x4b000000
	v_add_f32_e32 v88, 0xcb000008, v88
	v_lshrrev_b32_e32 v33, 16, v33
	v_add_f32_e32 v89, 0xcb000008, v89
	v_lshrrev_b32_e32 v90, 16, v90
	;; [unrolled: 2-line block ×3, first 2 shown]
	v_lshrrev_b32_e32 v92, 16, v92
	v_and_or_b32 v87, 0xffff0000, v93, v33
	v_and_or_b32 v88, 0xffff0000, v91, v95
	;; [unrolled: 1-line block ×5, first 2 shown]
	v_lshrrev_b32_e32 v33, 4, v35
	v_lshrrev_b32_e32 v34, 8, v35
	;; [unrolled: 1-line block ×3, first 2 shown]
	v_and_or_b32 v93, v35, 15, 0x4b000000
	v_ashrrev_i32_e32 v35, 16, v35
	v_and_or_b32 v33, v33, 15, 0x4b000000
	v_and_or_b32 v34, v34, 15, 0x4b000000
	;; [unrolled: 1-line block ×3, first 2 shown]
	v_add_f32_e32 v93, 0xcb000008, v93
	v_lshrrev_b32_e32 v94, 4, v35
	v_lshrrev_b32_e32 v95, 12, v35
	;; [unrolled: 1-line block ×3, first 2 shown]
	v_and_or_b32 v35, v35, 15, 0x4b000000
	v_dual_add_f32 v33, 0xcb000008, v33 :: v_dual_add_f32 v92, 0xcb000008, v92
	v_and_or_b32 v94, v94, 15, 0x4b000000
	v_and_or_b32 v95, v95, 15, 0x4b000000
	;; [unrolled: 1-line block ×3, first 2 shown]
	v_dual_add_f32 v35, 0xcb000008, v35 :: v_dual_add_f32 v34, 0xcb000008, v34
	s_delay_alu instid0(VALU_DEP_3) | instskip(NEXT) | instid1(VALU_DEP_3)
	v_dual_add_f32 v94, 0xcb000008, v94 :: v_dual_add_f32 v95, 0xcb000008, v95
	v_add_f32_e32 v96, 0xcb000008, v96
	v_lshrrev_b32_e32 v33, 16, v33
	v_lshrrev_b32_e32 v97, 16, v92
	s_delay_alu instid0(VALU_DEP_4)
	v_lshrrev_b32_e32 v94, 16, v94
	v_lshrrev_b32_e32 v95, 16, v95
	s_wait_dscnt 0x0
	v_and_or_b32 v100, v80, 15, 0x4b000000
	v_and_or_b32 v92, 0xffff0000, v93, v33
	;; [unrolled: 1-line block ×5, first 2 shown]
	v_ashrrev_i32_e32 v96, 16, v36
	v_lshrrev_b32_e32 v34, 8, v36
	v_lshrrev_b32_e32 v35, 12, v36
	v_lshrrev_b32_e32 v33, 4, v36
	v_and_or_b32 v36, v36, 15, 0x4b000000
	v_lshrrev_b32_e32 v97, 4, v96
	v_and_or_b32 v34, v34, 15, 0x4b000000
	v_and_or_b32 v35, v35, 15, 0x4b000000
	;; [unrolled: 1-line block ×3, first 2 shown]
	v_lshrrev_b32_e32 v98, 12, v96
	v_and_or_b32 v97, v97, 15, 0x4b000000
	s_delay_alu instid0(VALU_DEP_4) | instskip(SKIP_2) | instid1(VALU_DEP_4)
	v_dual_add_f32 v34, 0xcb000008, v34 :: v_dual_add_f32 v35, 0xcb000008, v35
	v_lshrrev_b32_e32 v99, 8, v96
	v_and_or_b32 v96, v96, 15, 0x4b000000
	v_add_f32_e32 v97, 0xcb000008, v97
	v_dual_add_f32 v33, 0xcb000008, v33 :: v_dual_add_f32 v36, 0xcb000008, v36
	v_lshrrev_b32_e32 v35, 16, v35
	s_delay_alu instid0(VALU_DEP_4) | instskip(NEXT) | instid1(VALU_DEP_4)
	v_add_f32_e32 v96, 0xcb000008, v96
	v_lshrrev_b32_e32 v97, 16, v97
	s_delay_alu instid0(VALU_DEP_4)
	v_lshrrev_b32_e32 v33, 16, v33
	v_and_or_b32 v98, v98, 15, 0x4b000000
	v_and_or_b32 v99, v99, 15, 0x4b000000
	;; [unrolled: 1-line block ×4, first 2 shown]
	v_lshrrev_b32_e32 v97, 8, v80
	v_and_or_b32 v33, 0xffff0000, v36, v33
	v_lshrrev_b32_e32 v96, 4, v80
	v_and_or_b32 v133, v83, 15, 0x4b000000
	s_delay_alu instid0(VALU_DEP_4)
	v_and_or_b32 v97, v97, 15, 0x4b000000
	v_add_f32_e32 v36, 0xcb000008, v98
	v_add_f32_e32 v98, 0xcb000008, v99
	v_lshrrev_b32_e32 v99, 12, v80
	v_ashrrev_i32_e32 v80, 16, v80
	v_add_f32_e32 v97, 0xcb000008, v97
	v_lshrrev_b32_e32 v36, 16, v36
	v_and_or_b32 v96, v96, 15, 0x4b000000
	v_and_or_b32 v99, v99, 15, 0x4b000000
	v_lshrrev_b32_e32 v101, 4, v80
	v_lshrrev_b32_e32 v102, 12, v80
	;; [unrolled: 1-line block ×3, first 2 shown]
	v_and_or_b32 v80, v80, 15, 0x4b000000
	v_dual_add_f32 v100, 0xcb000008, v100 :: v_dual_add_f32 v99, 0xcb000008, v99
	v_and_or_b32 v101, v101, 15, 0x4b000000
	v_and_or_b32 v102, v102, 15, 0x4b000000
	s_delay_alu instid0(VALU_DEP_4) | instskip(SKIP_1) | instid1(VALU_DEP_4)
	v_add_f32_e32 v80, 0xcb000008, v80
	v_and_or_b32 v127, v127, 15, 0x4b000000
	v_dual_add_f32 v96, 0xcb000008, v96 :: v_dual_add_f32 v101, 0xcb000008, v101
	v_and_or_b32 v36, 0xffff0000, v98, v36
	v_lshrrev_b32_e32 v99, 16, v99
	s_delay_alu instid0(VALU_DEP_4) | instskip(NEXT) | instid1(VALU_DEP_4)
	v_add_f32_e32 v127, 0xcb000008, v127
	v_lshrrev_b32_e32 v96, 16, v96
	v_lshrrev_b32_e32 v101, 16, v101
	v_add_f32_e32 v133, 0xcb000008, v133
	v_and_or_b32 v97, 0xffff0000, v97, v99
	s_delay_alu instid0(VALU_DEP_4) | instskip(NEXT) | instid1(VALU_DEP_4)
	v_and_or_b32 v96, 0xffff0000, v100, v96
	v_and_or_b32 v98, 0xffff0000, v80, v101
	v_lshrrev_b32_e32 v101, 12, v81
	v_lshrrev_b32_e32 v80, 4, v81
	;; [unrolled: 1-line block ×3, first 2 shown]
	s_delay_alu instid0(VALU_DEP_3) | instskip(SKIP_1) | instid1(VALU_DEP_4)
	v_and_or_b32 v101, v101, 15, 0x4b000000
	v_add_f32_e32 v102, 0xcb000008, v102
	v_and_or_b32 v80, v80, 15, 0x4b000000
	s_delay_alu instid0(VALU_DEP_4) | instskip(NEXT) | instid1(VALU_DEP_4)
	v_and_or_b32 v100, v100, 15, 0x4b000000
	v_add_f32_e32 v101, 0xcb000008, v101
	s_delay_alu instid0(VALU_DEP_4) | instskip(NEXT) | instid1(VALU_DEP_2)
	v_lshrrev_b32_e32 v102, 16, v102
	v_lshrrev_b32_e32 v101, 16, v101
	s_delay_alu instid0(VALU_DEP_2) | instskip(SKIP_2) | instid1(VALU_DEP_1)
	v_and_or_b32 v99, 0xffff0000, v127, v102
	v_and_or_b32 v102, v81, 15, 0x4b000000
	v_ashrrev_i32_e32 v81, 16, v81
	v_lshrrev_b32_e32 v127, 4, v81
	v_lshrrev_b32_e32 v128, 12, v81
	;; [unrolled: 1-line block ×3, first 2 shown]
	v_and_or_b32 v81, v81, 15, 0x4b000000
	v_add_f32_e32 v102, 0xcb000008, v102
	v_and_or_b32 v127, v127, 15, 0x4b000000
	v_and_or_b32 v128, v128, 15, 0x4b000000
	;; [unrolled: 1-line block ×3, first 2 shown]
	v_dual_add_f32 v81, 0xcb000008, v81 :: v_dual_add_f32 v80, 0xcb000008, v80
	s_delay_alu instid0(VALU_DEP_3) | instskip(NEXT) | instid1(VALU_DEP_3)
	v_dual_add_f32 v127, 0xcb000008, v127 :: v_dual_add_f32 v128, 0xcb000008, v128
	v_add_f32_e32 v131, 0xcb000008, v129
	s_delay_alu instid0(VALU_DEP_3) | instskip(NEXT) | instid1(VALU_DEP_3)
	v_lshrrev_b32_e32 v80, 16, v80
	v_lshrrev_b32_e32 v130, 16, v127
	s_delay_alu instid0(VALU_DEP_4) | instskip(NEXT) | instid1(VALU_DEP_3)
	v_lshrrev_b32_e32 v132, 16, v128
	v_and_or_b32 v127, 0xffff0000, v102, v80
	s_delay_alu instid0(VALU_DEP_3) | instskip(SKIP_3) | instid1(VALU_DEP_3)
	v_and_or_b32 v129, 0xffff0000, v81, v130
	v_lshrrev_b32_e32 v81, 8, v82
	v_lshrrev_b32_e32 v80, 4, v82
	v_and_or_b32 v130, 0xffff0000, v131, v132
	v_and_or_b32 v81, v81, 15, 0x4b000000
	v_add_f32_e32 v100, 0xcb000008, v100
	s_delay_alu instid0(VALU_DEP_4) | instskip(NEXT) | instid1(VALU_DEP_3)
	v_and_or_b32 v80, v80, 15, 0x4b000000
	v_add_f32_e32 v81, 0xcb000008, v81
	s_delay_alu instid0(VALU_DEP_3) | instskip(SKIP_3) | instid1(VALU_DEP_3)
	v_and_or_b32 v128, 0xffff0000, v100, v101
	v_ashrrev_i32_e32 v101, 16, v82
	v_lshrrev_b32_e32 v100, 12, v82
	v_and_or_b32 v82, v82, 15, 0x4b000000
	v_lshrrev_b32_e32 v102, 4, v101
	v_lshrrev_b32_e32 v131, 12, v101
	v_lshrrev_b32_e32 v132, 8, v101
	v_and_or_b32 v101, v101, 15, 0x4b000000
	v_add_f32_e32 v82, 0xcb000008, v82
	v_and_or_b32 v102, v102, 15, 0x4b000000
	v_and_or_b32 v131, v131, 15, 0x4b000000
	s_delay_alu instid0(VALU_DEP_4) | instskip(SKIP_1) | instid1(VALU_DEP_3)
	v_dual_add_f32 v80, 0xcb000008, v80 :: v_dual_add_f32 v101, 0xcb000008, v101
	v_and_or_b32 v100, v100, 15, 0x4b000000
	v_dual_add_f32 v102, 0xcb000008, v102 :: v_dual_add_f32 v131, 0xcb000008, v131
	s_delay_alu instid0(VALU_DEP_3) | instskip(SKIP_1) | instid1(VALU_DEP_3)
	v_lshrrev_b32_e32 v80, 16, v80
	v_and_or_b32 v132, v132, 15, 0x4b000000
	v_lshrrev_b32_e32 v102, 16, v102
	s_delay_alu instid0(VALU_DEP_3) | instskip(NEXT) | instid1(VALU_DEP_2)
	v_and_or_b32 v80, 0xffff0000, v82, v80
	v_and_or_b32 v82, 0xffff0000, v101, v102
	v_lshrrev_b32_e32 v101, 4, v83
	v_lshrrev_b32_e32 v102, 16, v131
	;; [unrolled: 1-line block ×3, first 2 shown]
	s_delay_alu instid0(VALU_DEP_3) | instskip(SKIP_1) | instid1(VALU_DEP_3)
	v_and_or_b32 v101, v101, 15, 0x4b000000
	v_add_f32_e32 v100, 0xcb000008, v100
	v_and_or_b32 v131, v131, 15, 0x4b000000
	s_delay_alu instid0(VALU_DEP_3) | instskip(NEXT) | instid1(VALU_DEP_3)
	v_add_f32_e32 v101, 0xcb000008, v101
	v_lshrrev_b32_e32 v100, 16, v100
	s_delay_alu instid0(VALU_DEP_3) | instskip(NEXT) | instid1(VALU_DEP_3)
	v_add_f32_e32 v136, 0xcb000008, v131
	v_lshrrev_b32_e32 v101, 16, v101
	s_delay_alu instid0(VALU_DEP_3) | instskip(SKIP_3) | instid1(VALU_DEP_2)
	v_and_or_b32 v81, 0xffff0000, v81, v100
	v_add_f32_e32 v100, 0xcb000008, v132
	v_lshrrev_b32_e32 v132, 12, v83
	v_ashrrev_i32_e32 v83, 16, v83
	v_and_or_b32 v132, v132, 15, 0x4b000000
	s_delay_alu instid0(VALU_DEP_2) | instskip(SKIP_1) | instid1(VALU_DEP_3)
	v_lshrrev_b32_e32 v134, 4, v83
	v_lshrrev_b32_e32 v135, 12, v83
	v_add_f32_e32 v131, 0xcb000008, v132
	v_lshrrev_b32_e32 v132, 8, v83
	s_delay_alu instid0(VALU_DEP_4) | instskip(NEXT) | instid1(VALU_DEP_4)
	v_and_or_b32 v134, v134, 15, 0x4b000000
	v_and_or_b32 v135, v135, 15, 0x4b000000
	;; [unrolled: 1-line block ×3, first 2 shown]
	v_lshrrev_b32_e32 v137, 16, v131
	v_and_or_b32 v132, v132, 15, 0x4b000000
	s_delay_alu instid0(VALU_DEP_4) | instskip(NEXT) | instid1(VALU_DEP_4)
	v_dual_add_f32 v134, 0xcb000008, v134 :: v_dual_add_f32 v135, 0xcb000008, v135
	v_add_f32_e32 v138, 0xcb000008, v83
	v_and_or_b32 v83, 0xffff0000, v100, v102
	s_delay_alu instid0(VALU_DEP_4) | instskip(NEXT) | instid1(VALU_DEP_4)
	v_add_f32_e32 v139, 0xcb000008, v132
	v_lshrrev_b32_e32 v134, 16, v134
	v_lshrrev_b32_e32 v135, 16, v135
	v_and_or_b32 v131, 0xffff0000, v133, v101
	v_and_or_b32 v132, 0xffff0000, v136, v137
	s_delay_alu instid0(VALU_DEP_4) | instskip(NEXT) | instid1(VALU_DEP_4)
	v_and_or_b32 v133, 0xffff0000, v138, v134
	v_and_or_b32 v134, 0xffff0000, v139, v135
	; sched_barrier mask(0x00000000)
	s_barrier_signal -1
	s_barrier_wait -1
	; sched_barrier mask(0x00000000)
	v_wmma_f32_16x16x16_bf16 v[1:8], v[84:87], v[37:40], v[1:8]
	s_delay_alu instid0(VALU_DEP_1) | instskip(NEXT) | instid1(VALU_DEP_1)
	v_wmma_f32_16x16x16_bf16 v[1:8], v[88:91], v[60:63], v[1:8]
	v_wmma_f32_16x16x16_bf16 v[1:8], v[92:95], v[64:67], v[1:8]
	s_delay_alu instid0(VALU_DEP_1)
	v_wmma_f32_16x16x16_bf16 v[1:8], v[33:36], v[68:71], v[1:8]
	; sched_barrier mask(0x00000000)
	s_setprio 1
	; sched_barrier mask(0x00000000)
	; sched_barrier mask(0x00000000)
	s_wait_dscnt 0x0
	s_barrier_signal -1
	s_barrier_wait -1
	; sched_barrier mask(0x00000000)
	v_wmma_f32_16x16x16_bf16 v[1:8], v[96:99], v[72:75], v[1:8]
	s_delay_alu instid0(VALU_DEP_1) | instskip(NEXT) | instid1(VALU_DEP_1)
	v_wmma_f32_16x16x16_bf16 v[1:8], v[127:130], v[76:79], v[1:8]
	v_wmma_f32_16x16x16_bf16 v[1:8], v[80:83], v[29:32], v[1:8]
	s_delay_alu instid0(VALU_DEP_1)
	v_wmma_f32_16x16x16_bf16 v[1:8], v[131:134], v[25:28], v[1:8]
	; sched_barrier mask(0x00000000)
	s_setprio 0
	; sched_barrier mask(0x00000000)
	v_lshlrev_b32_e32 v25, 1, v59
	v_add_nc_u32_e32 v26, -1, v108
	v_add_nc_u32_e32 v37, 0x80, v57
	v_lshrrev_b32_e32 v33, 31, v57
	v_add_nc_u32_e32 v130, v109, v126
	s_wait_loadcnt 0x7
	ds_store_b128 v25, v[53:56]
	v_ashrrev_i32_e32 v25, 31, v108
	v_ashrrev_i32_e32 v27, 31, v26
	v_lshrrev_b32_e32 v38, 31, v37
	v_add_nc_u32_e32 v33, v57, v33
	v_add_nc_u32_e64 v134, 4, s21
	v_lshrrev_b32_e32 v25, 28, v25
	v_lshrrev_b32_e32 v27, 28, v27
	v_add_nc_u32_e32 v37, v37, v38
	v_add_nc_u32_e32 v129, v109, v115
	v_add_nc_u32_e32 v29, 0xfffffe00, v130
	v_add_nc_u32_e32 v25, v108, v25
	v_add_nc_u32_e32 v27, v26, v27
	v_ashrrev_i32_e32 v33, 1, v33
	v_ashrrev_i32_e32 v37, 1, v37
	buffer_load_b128 v[29:32], v29, s[8:11], null offen
	v_and_b32_e32 v25, -16, v25
	v_and_b32_e32 v27, -16, v27
	s_clause 0x1
	buffer_load_b128 v[33:36], v33, s[0:3], null offen
	buffer_load_b128 v[37:40], v37, s[0:3], null offen
	v_sub_nc_u32_e32 v25, v108, v25
	v_sub_nc_u32_e32 v26, v26, v27
	s_delay_alu instid0(VALU_DEP_2) | instskip(NEXT) | instid1(VALU_DEP_1)
	v_xor_b32_e32 v131, v25, v105
	v_sub_nc_u32_e32 v25, v131, v113
	s_delay_alu instid0(VALU_DEP_3) | instskip(NEXT) | instid1(VALU_DEP_2)
	v_xor_b32_e32 v113, v26, v105
	v_lshlrev_b32_e32 v25, 3, v25
	s_delay_alu instid0(VALU_DEP_2) | instskip(NEXT) | instid1(VALU_DEP_2)
	v_sub_nc_u32_e32 v26, v113, v131
	v_add3_u32 v25, v59, v112, v25
	s_delay_alu instid0(VALU_DEP_2) | instskip(NEXT) | instid1(VALU_DEP_2)
	v_lshl_add_u32 v127, v26, 3, 0xffffff80
	v_lshlrev_b32_e32 v132, 1, v25
	s_delay_alu instid0(VALU_DEP_2) | instskip(SKIP_4) | instid1(VALU_DEP_1)
	v_add_nc_u32_e32 v133, v127, v25
	v_lshrrev_b32_e32 v25, 31, v110
	s_wait_loadcnt 0x9
	ds_store_b128 v132, v[49:52]
	v_add_nc_u32_e32 v25, v110, v25
	v_ashrrev_i32_e32 v25, 1, v25
	s_wait_loadcnt 0x8
	ds_store_b128 v25, v[41:44] offset:4096
	v_add_nc_u32_e32 v25, v110, v123
	v_sub_nc_u32_e32 v41, v134, v58
	s_delay_alu instid0(VALU_DEP_2) | instskip(SKIP_1) | instid1(VALU_DEP_3)
	v_lshrrev_b32_e32 v26, 31, v25
	v_add_nc_u32_e32 v110, v25, v125
	v_mad_co_u64_u32 v[101:102], null, v41, s12, v[57:58]
	s_delay_alu instid0(VALU_DEP_3) | instskip(NEXT) | instid1(VALU_DEP_1)
	v_add_nc_u32_e32 v26, v25, v26
	v_ashrrev_i32_e32 v128, 1, v26
	buffer_load_b128 v[25:28], v129, s[8:11], null offen offset:768
	s_wait_loadcnt 0x8
	ds_store_b128 v128, v[45:48] offset:4096
	s_wait_dscnt 0x0
	s_barrier_signal -1
	s_barrier_wait -1
	ds_load_b128 v[69:72], v111
	ds_load_b128 v[65:68], v116
	;; [unrolled: 1-line block ×8, first 2 shown]
	ds_load_b128 v[84:87], v124 offset:4096
	ds_load_b128 v[135:138], v106 offset:4096
	s_wait_dscnt 0x1
	v_lshrrev_b32_e32 v74, 4, v84
	v_lshrrev_b32_e32 v76, 12, v84
	v_and_or_b32 v73, v84, 15, 0x4b000000
	v_lshrrev_b32_e32 v75, 8, v84
	v_lshrrev_b32_e32 v80, 12, v85
	v_and_or_b32 v74, v74, 15, 0x4b000000
	v_and_or_b32 v76, v76, 15, 0x4b000000
	v_add_f32_e32 v73, 0xcb000008, v73
	v_and_or_b32 v75, v75, 15, 0x4b000000
	v_and_or_b32 v80, v80, 15, 0x4b000000
	v_add_f32_e32 v74, 0xcb000008, v74
	v_add_f32_e32 v76, 0xcb000008, v76
	v_lshrrev_b32_e32 v89, 12, v87
	s_delay_alu instid0(VALU_DEP_4) | instskip(NEXT) | instid1(VALU_DEP_4)
	v_dual_add_f32 v75, 0xcb000008, v75 :: v_dual_add_f32 v80, 0xcb000008, v80
	v_lshrrev_b32_e32 v74, 16, v74
	s_wait_dscnt 0x0
	v_lshrrev_b32_e32 v92, 12, v135
	v_and_or_b32 v89, v89, 15, 0x4b000000
	v_lshrrev_b32_e32 v96, 12, v136
	v_lshrrev_b32_e32 v100, 12, v137
	v_and_or_b32 v73, 0xffff0000, v73, v74
	v_lshrrev_b32_e32 v74, 16, v76
	v_add_f32_e32 v89, 0xcb000008, v89
	v_and_or_b32 v92, v92, 15, 0x4b000000
	v_and_or_b32 v96, v96, 15, 0x4b000000
	v_and_or_b32 v100, v100, 15, 0x4b000000
	v_and_or_b32 v74, 0xffff0000, v75, v74
	v_ashrrev_i32_e32 v75, 16, v84
	v_lshrrev_b32_e32 v84, 12, v86
	v_add_f32_e32 v92, 0xcb000008, v92
	v_add_f32_e32 v96, 0xcb000008, v96
	;; [unrolled: 1-line block ×3, first 2 shown]
	v_lshrrev_b32_e32 v77, 4, v75
	v_and_or_b32 v76, v75, 15, 0x4b000000
	v_lshrrev_b32_e32 v78, 8, v75
	v_lshrrev_b32_e32 v75, 12, v75
	v_and_or_b32 v84, v84, 15, 0x4b000000
	v_and_or_b32 v77, v77, 15, 0x4b000000
	v_add_f32_e32 v76, 0xcb000008, v76
	v_and_or_b32 v78, v78, 15, 0x4b000000
	v_and_or_b32 v75, v75, 15, 0x4b000000
	s_delay_alu instid0(VALU_DEP_4) | instskip(NEXT) | instid1(VALU_DEP_2)
	v_dual_add_f32 v84, 0xcb000008, v84 :: v_dual_add_f32 v77, 0xcb000008, v77
	v_dual_add_f32 v78, 0xcb000008, v78 :: v_dual_add_f32 v79, 0xcb000008, v75
	s_delay_alu instid0(VALU_DEP_2) | instskip(SKIP_1) | instid1(VALU_DEP_2)
	v_lshrrev_b32_e32 v75, 16, v77
	v_and_or_b32 v77, v85, 15, 0x4b000000
	v_and_or_b32 v75, 0xffff0000, v76, v75
	s_delay_alu instid0(VALU_DEP_4) | instskip(SKIP_1) | instid1(VALU_DEP_4)
	v_lshrrev_b32_e32 v76, 16, v79
	v_lshrrev_b32_e32 v79, 8, v85
	v_add_f32_e32 v77, 0xcb000008, v77
	s_delay_alu instid0(VALU_DEP_3) | instskip(SKIP_1) | instid1(VALU_DEP_4)
	v_and_or_b32 v76, 0xffff0000, v78, v76
	v_lshrrev_b32_e32 v78, 4, v85
	v_and_or_b32 v79, v79, 15, 0x4b000000
	s_delay_alu instid0(VALU_DEP_2) | instskip(NEXT) | instid1(VALU_DEP_1)
	v_and_or_b32 v78, v78, 15, 0x4b000000
	v_dual_add_f32 v79, 0xcb000008, v79 :: v_dual_add_f32 v78, 0xcb000008, v78
	s_delay_alu instid0(VALU_DEP_1) | instskip(NEXT) | instid1(VALU_DEP_1)
	v_lshrrev_b32_e32 v78, 16, v78
	v_and_or_b32 v77, 0xffff0000, v77, v78
	v_lshrrev_b32_e32 v78, 16, v80
	s_delay_alu instid0(VALU_DEP_1) | instskip(SKIP_1) | instid1(VALU_DEP_1)
	v_and_or_b32 v78, 0xffff0000, v79, v78
	v_ashrrev_i32_e32 v79, 16, v85
	v_lshrrev_b32_e32 v81, 4, v79
	v_and_or_b32 v80, v79, 15, 0x4b000000
	v_lshrrev_b32_e32 v82, 8, v79
	v_lshrrev_b32_e32 v79, 12, v79
	s_delay_alu instid0(VALU_DEP_4) | instskip(NEXT) | instid1(VALU_DEP_4)
	v_and_or_b32 v81, v81, 15, 0x4b000000
	v_add_f32_e32 v80, 0xcb000008, v80
	s_delay_alu instid0(VALU_DEP_4) | instskip(NEXT) | instid1(VALU_DEP_4)
	v_and_or_b32 v82, v82, 15, 0x4b000000
	v_and_or_b32 v79, v79, 15, 0x4b000000
	s_delay_alu instid0(VALU_DEP_2) | instskip(NEXT) | instid1(VALU_DEP_2)
	v_dual_add_f32 v81, 0xcb000008, v81 :: v_dual_add_f32 v82, 0xcb000008, v82
	v_add_f32_e32 v83, 0xcb000008, v79
	s_delay_alu instid0(VALU_DEP_2) | instskip(SKIP_1) | instid1(VALU_DEP_2)
	v_lshrrev_b32_e32 v79, 16, v81
	v_and_or_b32 v81, v86, 15, 0x4b000000
	v_and_or_b32 v79, 0xffff0000, v80, v79
	s_delay_alu instid0(VALU_DEP_4) | instskip(SKIP_1) | instid1(VALU_DEP_4)
	v_lshrrev_b32_e32 v80, 16, v83
	v_lshrrev_b32_e32 v83, 8, v86
	v_add_f32_e32 v81, 0xcb000008, v81
	s_delay_alu instid0(VALU_DEP_3) | instskip(SKIP_1) | instid1(VALU_DEP_4)
	v_and_or_b32 v80, 0xffff0000, v82, v80
	v_lshrrev_b32_e32 v82, 4, v86
	v_and_or_b32 v83, v83, 15, 0x4b000000
	s_delay_alu instid0(VALU_DEP_2) | instskip(NEXT) | instid1(VALU_DEP_1)
	v_and_or_b32 v82, v82, 15, 0x4b000000
	v_dual_add_f32 v83, 0xcb000008, v83 :: v_dual_add_f32 v82, 0xcb000008, v82
	s_delay_alu instid0(VALU_DEP_1) | instskip(NEXT) | instid1(VALU_DEP_1)
	v_lshrrev_b32_e32 v82, 16, v82
	v_and_or_b32 v81, 0xffff0000, v81, v82
	v_lshrrev_b32_e32 v82, 16, v84
	s_delay_alu instid0(VALU_DEP_1) | instskip(SKIP_1) | instid1(VALU_DEP_1)
	v_and_or_b32 v82, 0xffff0000, v83, v82
	v_ashrrev_i32_e32 v83, 16, v86
	v_lshrrev_b32_e32 v85, 4, v83
	v_and_or_b32 v84, v83, 15, 0x4b000000
	v_lshrrev_b32_e32 v86, 8, v83
	v_lshrrev_b32_e32 v83, 12, v83
	s_delay_alu instid0(VALU_DEP_4) | instskip(NEXT) | instid1(VALU_DEP_4)
	v_and_or_b32 v85, v85, 15, 0x4b000000
	v_add_f32_e32 v84, 0xcb000008, v84
	s_delay_alu instid0(VALU_DEP_4) | instskip(NEXT) | instid1(VALU_DEP_4)
	v_and_or_b32 v86, v86, 15, 0x4b000000
	v_and_or_b32 v83, v83, 15, 0x4b000000
	s_delay_alu instid0(VALU_DEP_2) | instskip(NEXT) | instid1(VALU_DEP_2)
	v_dual_add_f32 v85, 0xcb000008, v85 :: v_dual_add_f32 v86, 0xcb000008, v86
	v_add_f32_e32 v88, 0xcb000008, v83
	s_delay_alu instid0(VALU_DEP_2) | instskip(SKIP_1) | instid1(VALU_DEP_2)
	v_lshrrev_b32_e32 v83, 16, v85
	v_and_or_b32 v85, v87, 15, 0x4b000000
	v_and_or_b32 v83, 0xffff0000, v84, v83
	s_delay_alu instid0(VALU_DEP_4) | instskip(SKIP_1) | instid1(VALU_DEP_4)
	v_lshrrev_b32_e32 v84, 16, v88
	v_lshrrev_b32_e32 v88, 8, v87
	v_add_f32_e32 v85, 0xcb000008, v85
	s_delay_alu instid0(VALU_DEP_3) | instskip(SKIP_1) | instid1(VALU_DEP_4)
	v_and_or_b32 v84, 0xffff0000, v86, v84
	v_lshrrev_b32_e32 v86, 4, v87
	v_and_or_b32 v88, v88, 15, 0x4b000000
	v_ashrrev_i32_e32 v87, 16, v87
	s_delay_alu instid0(VALU_DEP_3) | instskip(NEXT) | instid1(VALU_DEP_3)
	v_and_or_b32 v86, v86, 15, 0x4b000000
	v_add_f32_e32 v88, 0xcb000008, v88
	s_delay_alu instid0(VALU_DEP_3) | instskip(NEXT) | instid1(VALU_DEP_3)
	v_lshrrev_b32_e32 v90, 8, v87
	v_add_f32_e32 v86, 0xcb000008, v86
	s_delay_alu instid0(VALU_DEP_2) | instskip(NEXT) | instid1(VALU_DEP_2)
	v_and_or_b32 v90, v90, 15, 0x4b000000
	v_lshrrev_b32_e32 v86, 16, v86
	s_delay_alu instid0(VALU_DEP_2) | instskip(NEXT) | instid1(VALU_DEP_2)
	v_add_f32_e32 v90, 0xcb000008, v90
	v_and_or_b32 v85, 0xffff0000, v85, v86
	v_lshrrev_b32_e32 v86, 16, v89
	v_lshrrev_b32_e32 v89, 4, v87
	s_delay_alu instid0(VALU_DEP_2) | instskip(SKIP_1) | instid1(VALU_DEP_3)
	v_and_or_b32 v86, 0xffff0000, v88, v86
	v_and_or_b32 v88, v87, 15, 0x4b000000
	;; [unrolled: 1-line block ×3, first 2 shown]
	v_lshrrev_b32_e32 v87, 12, v87
	s_delay_alu instid0(VALU_DEP_2) | instskip(NEXT) | instid1(VALU_DEP_2)
	v_dual_add_f32 v88, 0xcb000008, v88 :: v_dual_add_f32 v89, 0xcb000008, v89
	v_and_or_b32 v87, v87, 15, 0x4b000000
	s_delay_alu instid0(VALU_DEP_1) | instskip(NEXT) | instid1(VALU_DEP_3)
	v_add_f32_e32 v91, 0xcb000008, v87
	v_lshrrev_b32_e32 v87, 16, v89
	v_and_or_b32 v89, v135, 15, 0x4b000000
	s_delay_alu instid0(VALU_DEP_2) | instskip(NEXT) | instid1(VALU_DEP_4)
	v_and_or_b32 v87, 0xffff0000, v88, v87
	v_lshrrev_b32_e32 v88, 16, v91
	v_lshrrev_b32_e32 v91, 8, v135
	s_delay_alu instid0(VALU_DEP_4) | instskip(NEXT) | instid1(VALU_DEP_3)
	v_add_f32_e32 v89, 0xcb000008, v89
	v_and_or_b32 v88, 0xffff0000, v90, v88
	v_lshrrev_b32_e32 v90, 4, v135
	s_delay_alu instid0(VALU_DEP_4) | instskip(NEXT) | instid1(VALU_DEP_2)
	v_and_or_b32 v91, v91, 15, 0x4b000000
	v_and_or_b32 v90, v90, 15, 0x4b000000
	s_delay_alu instid0(VALU_DEP_1) | instskip(NEXT) | instid1(VALU_DEP_1)
	v_dual_add_f32 v91, 0xcb000008, v91 :: v_dual_add_f32 v90, 0xcb000008, v90
	v_lshrrev_b32_e32 v90, 16, v90
	s_delay_alu instid0(VALU_DEP_1) | instskip(SKIP_1) | instid1(VALU_DEP_1)
	v_and_or_b32 v89, 0xffff0000, v89, v90
	v_lshrrev_b32_e32 v90, 16, v92
	v_and_or_b32 v90, 0xffff0000, v91, v90
	v_ashrrev_i32_e32 v91, 16, v135
	s_delay_alu instid0(VALU_DEP_1) | instskip(SKIP_3) | instid1(VALU_DEP_4)
	v_lshrrev_b32_e32 v93, 4, v91
	v_and_or_b32 v92, v91, 15, 0x4b000000
	v_lshrrev_b32_e32 v94, 8, v91
	v_lshrrev_b32_e32 v91, 12, v91
	v_and_or_b32 v93, v93, 15, 0x4b000000
	s_delay_alu instid0(VALU_DEP_4) | instskip(NEXT) | instid1(VALU_DEP_4)
	v_add_f32_e32 v92, 0xcb000008, v92
	v_and_or_b32 v94, v94, 15, 0x4b000000
	s_delay_alu instid0(VALU_DEP_4) | instskip(NEXT) | instid1(VALU_DEP_2)
	v_and_or_b32 v91, v91, 15, 0x4b000000
	v_dual_add_f32 v93, 0xcb000008, v93 :: v_dual_add_f32 v94, 0xcb000008, v94
	s_delay_alu instid0(VALU_DEP_2) | instskip(NEXT) | instid1(VALU_DEP_2)
	v_add_f32_e32 v95, 0xcb000008, v91
	v_lshrrev_b32_e32 v91, 16, v93
	v_and_or_b32 v93, v136, 15, 0x4b000000
	s_delay_alu instid0(VALU_DEP_2) | instskip(NEXT) | instid1(VALU_DEP_4)
	v_and_or_b32 v91, 0xffff0000, v92, v91
	v_lshrrev_b32_e32 v92, 16, v95
	v_lshrrev_b32_e32 v95, 8, v136
	s_delay_alu instid0(VALU_DEP_4) | instskip(NEXT) | instid1(VALU_DEP_3)
	v_add_f32_e32 v93, 0xcb000008, v93
	v_and_or_b32 v92, 0xffff0000, v94, v92
	v_lshrrev_b32_e32 v94, 4, v136
	s_delay_alu instid0(VALU_DEP_4) | instskip(NEXT) | instid1(VALU_DEP_2)
	v_and_or_b32 v95, v95, 15, 0x4b000000
	v_and_or_b32 v94, v94, 15, 0x4b000000
	s_delay_alu instid0(VALU_DEP_1) | instskip(NEXT) | instid1(VALU_DEP_1)
	v_dual_add_f32 v95, 0xcb000008, v95 :: v_dual_add_f32 v94, 0xcb000008, v94
	v_lshrrev_b32_e32 v94, 16, v94
	s_delay_alu instid0(VALU_DEP_1) | instskip(SKIP_1) | instid1(VALU_DEP_1)
	v_and_or_b32 v93, 0xffff0000, v93, v94
	v_lshrrev_b32_e32 v94, 16, v96
	v_and_or_b32 v94, 0xffff0000, v95, v94
	v_ashrrev_i32_e32 v95, 16, v136
	s_delay_alu instid0(VALU_DEP_1) | instskip(SKIP_3) | instid1(VALU_DEP_4)
	v_lshrrev_b32_e32 v97, 4, v95
	v_and_or_b32 v96, v95, 15, 0x4b000000
	v_lshrrev_b32_e32 v98, 8, v95
	v_lshrrev_b32_e32 v95, 12, v95
	v_and_or_b32 v97, v97, 15, 0x4b000000
	s_delay_alu instid0(VALU_DEP_4) | instskip(NEXT) | instid1(VALU_DEP_4)
	v_add_f32_e32 v96, 0xcb000008, v96
	v_and_or_b32 v98, v98, 15, 0x4b000000
	s_delay_alu instid0(VALU_DEP_4) | instskip(NEXT) | instid1(VALU_DEP_2)
	v_and_or_b32 v95, v95, 15, 0x4b000000
	v_dual_add_f32 v97, 0xcb000008, v97 :: v_dual_add_f32 v98, 0xcb000008, v98
	s_delay_alu instid0(VALU_DEP_2) | instskip(NEXT) | instid1(VALU_DEP_2)
	v_add_f32_e32 v99, 0xcb000008, v95
	v_lshrrev_b32_e32 v95, 16, v97
	v_and_or_b32 v97, v137, 15, 0x4b000000
	s_delay_alu instid0(VALU_DEP_2) | instskip(NEXT) | instid1(VALU_DEP_4)
	v_and_or_b32 v95, 0xffff0000, v96, v95
	v_lshrrev_b32_e32 v96, 16, v99
	v_lshrrev_b32_e32 v99, 8, v137
	s_delay_alu instid0(VALU_DEP_4) | instskip(NEXT) | instid1(VALU_DEP_3)
	v_add_f32_e32 v97, 0xcb000008, v97
	v_and_or_b32 v96, 0xffff0000, v98, v96
	v_lshrrev_b32_e32 v98, 4, v137
	s_delay_alu instid0(VALU_DEP_4) | instskip(NEXT) | instid1(VALU_DEP_2)
	v_and_or_b32 v99, v99, 15, 0x4b000000
	v_and_or_b32 v98, v98, 15, 0x4b000000
	s_delay_alu instid0(VALU_DEP_1) | instskip(NEXT) | instid1(VALU_DEP_1)
	v_dual_add_f32 v99, 0xcb000008, v99 :: v_dual_add_f32 v98, 0xcb000008, v98
	v_lshrrev_b32_e32 v98, 16, v98
	s_delay_alu instid0(VALU_DEP_1) | instskip(SKIP_1) | instid1(VALU_DEP_1)
	v_and_or_b32 v97, 0xffff0000, v97, v98
	v_lshrrev_b32_e32 v98, 16, v100
	v_and_or_b32 v98, 0xffff0000, v99, v98
	v_ashrrev_i32_e32 v99, 16, v137
	v_lshrrev_b32_e32 v137, 12, v138
	s_delay_alu instid0(VALU_DEP_2)
	v_lshrrev_b32_e32 v102, 4, v99
	v_and_or_b32 v100, v99, 15, 0x4b000000
	v_lshrrev_b32_e32 v135, 8, v99
	v_lshrrev_b32_e32 v99, 12, v99
	v_and_or_b32 v137, v137, 15, 0x4b000000
	v_and_or_b32 v102, v102, 15, 0x4b000000
	v_add_f32_e32 v100, 0xcb000008, v100
	v_and_or_b32 v135, v135, 15, 0x4b000000
	v_and_or_b32 v99, v99, 15, 0x4b000000
	s_delay_alu instid0(VALU_DEP_4) | instskip(NEXT) | instid1(VALU_DEP_3)
	v_dual_add_f32 v137, 0xcb000008, v137 :: v_dual_add_f32 v102, 0xcb000008, v102
	v_add_f32_e32 v135, 0xcb000008, v135
	s_delay_alu instid0(VALU_DEP_3) | instskip(NEXT) | instid1(VALU_DEP_3)
	v_add_f32_e32 v136, 0xcb000008, v99
	v_lshrrev_b32_e32 v99, 16, v102
	v_and_or_b32 v102, v138, 15, 0x4b000000
	s_delay_alu instid0(VALU_DEP_2) | instskip(NEXT) | instid1(VALU_DEP_4)
	v_and_or_b32 v99, 0xffff0000, v100, v99
	v_lshrrev_b32_e32 v100, 16, v136
	v_lshrrev_b32_e32 v136, 8, v138
	s_delay_alu instid0(VALU_DEP_4) | instskip(NEXT) | instid1(VALU_DEP_3)
	v_add_f32_e32 v102, 0xcb000008, v102
	v_and_or_b32 v100, 0xffff0000, v135, v100
	v_lshrrev_b32_e32 v135, 4, v138
	s_delay_alu instid0(VALU_DEP_4) | instskip(NEXT) | instid1(VALU_DEP_2)
	v_and_or_b32 v136, v136, 15, 0x4b000000
	v_and_or_b32 v135, v135, 15, 0x4b000000
	s_delay_alu instid0(VALU_DEP_1) | instskip(NEXT) | instid1(VALU_DEP_1)
	v_dual_add_f32 v136, 0xcb000008, v136 :: v_dual_add_f32 v135, 0xcb000008, v135
	v_lshrrev_b32_e32 v135, 16, v135
	s_delay_alu instid0(VALU_DEP_1) | instskip(SKIP_1) | instid1(VALU_DEP_1)
	v_and_or_b32 v135, 0xffff0000, v102, v135
	v_lshrrev_b32_e32 v102, 16, v137
	v_and_or_b32 v136, 0xffff0000, v136, v102
	v_ashrrev_i32_e32 v102, 16, v138
	s_delay_alu instid0(VALU_DEP_1) | instskip(SKIP_3) | instid1(VALU_DEP_4)
	v_and_or_b32 v137, v102, 15, 0x4b000000
	v_lshrrev_b32_e32 v138, 4, v102
	v_lshrrev_b32_e32 v139, 8, v102
	;; [unrolled: 1-line block ×3, first 2 shown]
	v_add_f32_e32 v137, 0xcb000008, v137
	s_delay_alu instid0(VALU_DEP_4) | instskip(NEXT) | instid1(VALU_DEP_4)
	v_and_or_b32 v138, v138, 15, 0x4b000000
	v_and_or_b32 v139, v139, 15, 0x4b000000
	s_delay_alu instid0(VALU_DEP_4) | instskip(NEXT) | instid1(VALU_DEP_2)
	v_and_or_b32 v102, v102, 15, 0x4b000000
	v_dual_add_f32 v138, 0xcb000008, v138 :: v_dual_add_f32 v139, 0xcb000008, v139
	s_delay_alu instid0(VALU_DEP_2) | instskip(NEXT) | instid1(VALU_DEP_2)
	v_add_f32_e32 v102, 0xcb000008, v102
	v_lshrrev_b32_e32 v138, 16, v138
	s_delay_alu instid0(VALU_DEP_2) | instskip(NEXT) | instid1(VALU_DEP_2)
	v_lshrrev_b32_e32 v102, 16, v102
	v_and_or_b32 v137, 0xffff0000, v137, v138
	s_delay_alu instid0(VALU_DEP_2) | instskip(SKIP_3) | instid1(VALU_DEP_1)
	v_and_or_b32 v138, 0xffff0000, v139, v102
	; sched_barrier mask(0x00000000)
	s_barrier_signal -1
	s_barrier_wait -1
	; sched_barrier mask(0x00000000)
	v_wmma_f32_16x16x16_bf16 v[1:8], v[73:76], v[69:72], v[1:8]
	v_wmma_f32_16x16x16_bf16 v[1:8], v[77:80], v[65:68], v[1:8]
	s_delay_alu instid0(VALU_DEP_1) | instskip(NEXT) | instid1(VALU_DEP_1)
	v_wmma_f32_16x16x16_bf16 v[1:8], v[81:84], v[61:64], v[1:8]
	v_wmma_f32_16x16x16_bf16 v[1:8], v[85:88], v[57:60], v[1:8]
	; sched_barrier mask(0x00000000)
	s_setprio 1
	; sched_barrier mask(0x00000000)
	; sched_barrier mask(0x00000000)
	s_wait_dscnt 0x0
	s_barrier_signal -1
	s_barrier_wait -1
	; sched_barrier mask(0x00000000)
	v_wmma_f32_16x16x16_bf16 v[1:8], v[89:92], v[53:56], v[1:8]
	s_delay_alu instid0(VALU_DEP_1) | instskip(NEXT) | instid1(VALU_DEP_1)
	v_wmma_f32_16x16x16_bf16 v[1:8], v[93:96], v[49:52], v[1:8]
	v_wmma_f32_16x16x16_bf16 v[1:8], v[97:100], v[45:48], v[1:8]
	s_delay_alu instid0(VALU_DEP_1) | instskip(SKIP_3) | instid1(VALU_DEP_2)
	v_wmma_f32_16x16x16_bf16 v[1:8], v[135:138], v[41:44], v[1:8]
	; sched_barrier mask(0x00000000)
	s_setprio 0
	; sched_barrier mask(0x00000000)
	v_lshlrev_b32_e32 v93, 1, v127
	v_add_nc_u32_e64 v97, 5, s21
	v_add_nc_u32_e32 v41, v132, v93
	s_wait_loadcnt 0x7
	ds_store_b128 v41, v[21:24]
	v_sub_nc_u32_e32 v21, v131, v113
	s_delay_alu instid0(VALU_DEP_1) | instskip(NEXT) | instid1(VALU_DEP_1)
	v_lshl_add_u32 v94, v21, 3, 0x80
	v_lshlrev_b32_e32 v91, 1, v94
	v_add3_u32 v96, v133, v94, v127
	s_delay_alu instid0(VALU_DEP_2) | instskip(SKIP_3) | instid1(VALU_DEP_1)
	v_add_nc_u32_e32 v95, v41, v91
	s_wait_loadcnt 0x6
	ds_store_b128 v95, v[17:20]
	v_lshrrev_b32_e32 v17, 31, v110
	v_add_nc_u32_e32 v17, v110, v17
	s_delay_alu instid0(VALU_DEP_1)
	v_ashrrev_i32_e32 v92, 1, v17
	s_wait_loadcnt 0x5
	ds_store_b128 v92, v[9:12] offset:4096
	s_wait_loadcnt 0x4
	ds_store_b128 v128, v[13:16] offset:4096
	v_add_nc_u32_e32 v9, 0xffffff00, v130
	s_clause 0x1
	buffer_load_b128 v[53:56], v129, s[8:11], null offen offset:1024
	buffer_load_b128 v[49:52], v9, s[8:11], null offen
	v_lshrrev_b32_e32 v9, 31, v101
	s_delay_alu instid0(VALU_DEP_1) | instskip(NEXT) | instid1(VALU_DEP_1)
	v_add_nc_u32_e32 v9, v101, v9
	v_ashrrev_i32_e32 v9, 1, v9
	buffer_load_b128 v[41:44], v9, s[0:3], null offen
	v_add_nc_u32_e32 v9, 0x80, v101
	s_delay_alu instid0(VALU_DEP_1) | instskip(NEXT) | instid1(VALU_DEP_1)
	v_lshrrev_b32_e32 v10, 31, v9
	v_add_nc_u32_e32 v9, v9, v10
	s_delay_alu instid0(VALU_DEP_1)
	v_ashrrev_i32_e32 v9, 1, v9
	buffer_load_b128 v[45:48], v9, s[0:3], null offen
	v_sub_nc_u32_e32 v9, v97, v134
	s_wait_dscnt 0x0
	s_barrier_signal -1
	s_barrier_wait -1
	s_delay_alu instid0(VALU_DEP_1)
	v_mad_co_u64_u32 v[89:90], null, v9, s12, v[101:102]
	ds_load_b128 v[69:72], v111
	ds_load_b128 v[65:68], v116
	ds_load_b128 v[61:64], v117
	ds_load_b128 v[57:60], v118
	ds_load_b128 v[21:24], v119
	ds_load_b128 v[17:20], v120
	ds_load_b128 v[13:16], v121
	ds_load_b128 v[9:12], v122
	ds_load_b128 v[84:87], v124 offset:4096
	s_wait_dscnt 0x0
	v_lshrrev_b32_e32 v74, 4, v84
	v_lshrrev_b32_e32 v76, 12, v84
	v_and_or_b32 v73, v84, 15, 0x4b000000
	v_lshrrev_b32_e32 v75, 8, v84
	v_lshrrev_b32_e32 v80, 12, v85
	v_and_or_b32 v74, v74, 15, 0x4b000000
	v_and_or_b32 v76, v76, 15, 0x4b000000
	v_add_f32_e32 v73, 0xcb000008, v73
	v_and_or_b32 v75, v75, 15, 0x4b000000
	v_and_or_b32 v80, v80, 15, 0x4b000000
	v_add_f32_e32 v74, 0xcb000008, v74
	v_add_f32_e32 v76, 0xcb000008, v76
	v_lshrrev_b32_e32 v90, 12, v87
	s_delay_alu instid0(VALU_DEP_4) | instskip(NEXT) | instid1(VALU_DEP_4)
	v_dual_add_f32 v75, 0xcb000008, v75 :: v_dual_add_f32 v80, 0xcb000008, v80
	v_lshrrev_b32_e32 v74, 16, v74
	s_delay_alu instid0(VALU_DEP_3) | instskip(NEXT) | instid1(VALU_DEP_2)
	v_and_or_b32 v90, v90, 15, 0x4b000000
	v_and_or_b32 v73, 0xffff0000, v73, v74
	v_lshrrev_b32_e32 v74, 16, v76
	s_delay_alu instid0(VALU_DEP_3) | instskip(NEXT) | instid1(VALU_DEP_2)
	v_add_f32_e32 v90, 0xcb000008, v90
	v_and_or_b32 v74, 0xffff0000, v75, v74
	v_ashrrev_i32_e32 v75, 16, v84
	v_lshrrev_b32_e32 v84, 12, v86
	s_delay_alu instid0(VALU_DEP_2)
	v_lshrrev_b32_e32 v77, 4, v75
	v_and_or_b32 v76, v75, 15, 0x4b000000
	v_lshrrev_b32_e32 v78, 8, v75
	v_lshrrev_b32_e32 v75, 12, v75
	v_and_or_b32 v84, v84, 15, 0x4b000000
	v_and_or_b32 v77, v77, 15, 0x4b000000
	v_add_f32_e32 v76, 0xcb000008, v76
	v_and_or_b32 v78, v78, 15, 0x4b000000
	v_and_or_b32 v75, v75, 15, 0x4b000000
	s_delay_alu instid0(VALU_DEP_4) | instskip(NEXT) | instid1(VALU_DEP_2)
	v_dual_add_f32 v84, 0xcb000008, v84 :: v_dual_add_f32 v77, 0xcb000008, v77
	v_dual_add_f32 v78, 0xcb000008, v78 :: v_dual_add_f32 v79, 0xcb000008, v75
	s_delay_alu instid0(VALU_DEP_2) | instskip(SKIP_1) | instid1(VALU_DEP_2)
	v_lshrrev_b32_e32 v75, 16, v77
	v_and_or_b32 v77, v85, 15, 0x4b000000
	v_and_or_b32 v75, 0xffff0000, v76, v75
	s_delay_alu instid0(VALU_DEP_4) | instskip(SKIP_1) | instid1(VALU_DEP_4)
	v_lshrrev_b32_e32 v76, 16, v79
	v_lshrrev_b32_e32 v79, 8, v85
	v_add_f32_e32 v77, 0xcb000008, v77
	s_delay_alu instid0(VALU_DEP_3) | instskip(SKIP_1) | instid1(VALU_DEP_4)
	v_and_or_b32 v76, 0xffff0000, v78, v76
	v_lshrrev_b32_e32 v78, 4, v85
	v_and_or_b32 v79, v79, 15, 0x4b000000
	s_delay_alu instid0(VALU_DEP_2) | instskip(NEXT) | instid1(VALU_DEP_1)
	v_and_or_b32 v78, v78, 15, 0x4b000000
	v_dual_add_f32 v79, 0xcb000008, v79 :: v_dual_add_f32 v78, 0xcb000008, v78
	s_delay_alu instid0(VALU_DEP_1) | instskip(NEXT) | instid1(VALU_DEP_1)
	v_lshrrev_b32_e32 v78, 16, v78
	v_and_or_b32 v77, 0xffff0000, v77, v78
	v_lshrrev_b32_e32 v78, 16, v80
	s_delay_alu instid0(VALU_DEP_1) | instskip(SKIP_1) | instid1(VALU_DEP_1)
	v_and_or_b32 v78, 0xffff0000, v79, v78
	v_ashrrev_i32_e32 v79, 16, v85
	v_lshrrev_b32_e32 v81, 4, v79
	v_and_or_b32 v80, v79, 15, 0x4b000000
	v_lshrrev_b32_e32 v82, 8, v79
	v_lshrrev_b32_e32 v79, 12, v79
	s_delay_alu instid0(VALU_DEP_4) | instskip(NEXT) | instid1(VALU_DEP_4)
	v_and_or_b32 v81, v81, 15, 0x4b000000
	v_add_f32_e32 v80, 0xcb000008, v80
	s_delay_alu instid0(VALU_DEP_4) | instskip(NEXT) | instid1(VALU_DEP_4)
	v_and_or_b32 v82, v82, 15, 0x4b000000
	v_and_or_b32 v79, v79, 15, 0x4b000000
	s_delay_alu instid0(VALU_DEP_2) | instskip(NEXT) | instid1(VALU_DEP_2)
	v_dual_add_f32 v81, 0xcb000008, v81 :: v_dual_add_f32 v82, 0xcb000008, v82
	v_add_f32_e32 v83, 0xcb000008, v79
	s_delay_alu instid0(VALU_DEP_2) | instskip(SKIP_1) | instid1(VALU_DEP_2)
	v_lshrrev_b32_e32 v79, 16, v81
	v_and_or_b32 v81, v86, 15, 0x4b000000
	v_and_or_b32 v79, 0xffff0000, v80, v79
	s_delay_alu instid0(VALU_DEP_4) | instskip(SKIP_1) | instid1(VALU_DEP_4)
	v_lshrrev_b32_e32 v80, 16, v83
	v_lshrrev_b32_e32 v83, 8, v86
	v_add_f32_e32 v81, 0xcb000008, v81
	s_delay_alu instid0(VALU_DEP_3) | instskip(SKIP_1) | instid1(VALU_DEP_4)
	v_and_or_b32 v80, 0xffff0000, v82, v80
	v_lshrrev_b32_e32 v82, 4, v86
	v_and_or_b32 v83, v83, 15, 0x4b000000
	s_delay_alu instid0(VALU_DEP_2) | instskip(NEXT) | instid1(VALU_DEP_1)
	v_and_or_b32 v82, v82, 15, 0x4b000000
	v_dual_add_f32 v83, 0xcb000008, v83 :: v_dual_add_f32 v82, 0xcb000008, v82
	s_delay_alu instid0(VALU_DEP_1) | instskip(NEXT) | instid1(VALU_DEP_1)
	v_lshrrev_b32_e32 v82, 16, v82
	v_and_or_b32 v81, 0xffff0000, v81, v82
	v_lshrrev_b32_e32 v82, 16, v84
	s_delay_alu instid0(VALU_DEP_1) | instskip(SKIP_1) | instid1(VALU_DEP_1)
	v_and_or_b32 v82, 0xffff0000, v83, v82
	v_ashrrev_i32_e32 v83, 16, v86
	v_lshrrev_b32_e32 v85, 4, v83
	v_and_or_b32 v84, v83, 15, 0x4b000000
	v_lshrrev_b32_e32 v86, 8, v83
	v_lshrrev_b32_e32 v83, 12, v83
	s_delay_alu instid0(VALU_DEP_4) | instskip(NEXT) | instid1(VALU_DEP_4)
	v_and_or_b32 v85, v85, 15, 0x4b000000
	v_add_f32_e32 v84, 0xcb000008, v84
	s_delay_alu instid0(VALU_DEP_4) | instskip(NEXT) | instid1(VALU_DEP_4)
	v_and_or_b32 v86, v86, 15, 0x4b000000
	v_and_or_b32 v83, v83, 15, 0x4b000000
	s_delay_alu instid0(VALU_DEP_2) | instskip(NEXT) | instid1(VALU_DEP_2)
	v_dual_add_f32 v85, 0xcb000008, v85 :: v_dual_add_f32 v86, 0xcb000008, v86
	v_add_f32_e32 v88, 0xcb000008, v83
	s_delay_alu instid0(VALU_DEP_2) | instskip(SKIP_1) | instid1(VALU_DEP_2)
	v_lshrrev_b32_e32 v83, 16, v85
	v_and_or_b32 v85, v87, 15, 0x4b000000
	v_and_or_b32 v83, 0xffff0000, v84, v83
	s_delay_alu instid0(VALU_DEP_4) | instskip(SKIP_1) | instid1(VALU_DEP_2)
	v_lshrrev_b32_e32 v84, 16, v88
	v_lshrrev_b32_e32 v88, 8, v87
	v_and_or_b32 v84, 0xffff0000, v86, v84
	v_lshrrev_b32_e32 v86, 4, v87
	v_ashrrev_i32_e32 v87, 16, v87
	s_delay_alu instid0(VALU_DEP_4) | instskip(NEXT) | instid1(VALU_DEP_3)
	v_and_or_b32 v88, v88, 15, 0x4b000000
	v_and_or_b32 v86, v86, 15, 0x4b000000
	s_delay_alu instid0(VALU_DEP_3) | instskip(NEXT) | instid1(VALU_DEP_3)
	v_lshrrev_b32_e32 v98, 8, v87
	v_add_f32_e32 v88, 0xcb000008, v88
	s_delay_alu instid0(VALU_DEP_3) | instskip(NEXT) | instid1(VALU_DEP_3)
	v_add_f32_e32 v86, 0xcb000008, v86
	v_and_or_b32 v98, v98, 15, 0x4b000000
	v_add_f32_e32 v85, 0xcb000008, v85
	s_delay_alu instid0(VALU_DEP_3) | instskip(NEXT) | instid1(VALU_DEP_3)
	v_lshrrev_b32_e32 v86, 16, v86
	v_add_f32_e32 v98, 0xcb000008, v98
	s_delay_alu instid0(VALU_DEP_2) | instskip(SKIP_2) | instid1(VALU_DEP_2)
	v_and_or_b32 v85, 0xffff0000, v85, v86
	v_lshrrev_b32_e32 v86, 16, v90
	v_lshrrev_b32_e32 v90, 4, v87
	v_and_or_b32 v86, 0xffff0000, v88, v86
	v_and_or_b32 v88, v87, 15, 0x4b000000
	s_delay_alu instid0(VALU_DEP_3) | instskip(SKIP_1) | instid1(VALU_DEP_3)
	v_and_or_b32 v90, v90, 15, 0x4b000000
	v_lshrrev_b32_e32 v87, 12, v87
	v_add_f32_e32 v88, 0xcb000008, v88
	s_delay_alu instid0(VALU_DEP_3) | instskip(NEXT) | instid1(VALU_DEP_3)
	v_add_f32_e32 v90, 0xcb000008, v90
	v_and_or_b32 v87, v87, 15, 0x4b000000
	s_delay_alu instid0(VALU_DEP_1) | instskip(NEXT) | instid1(VALU_DEP_3)
	v_add_f32_e32 v99, 0xcb000008, v87
	v_lshrrev_b32_e32 v87, 16, v90
	s_delay_alu instid0(VALU_DEP_1) | instskip(NEXT) | instid1(VALU_DEP_3)
	v_and_or_b32 v87, 0xffff0000, v88, v87
	v_lshrrev_b32_e32 v88, 16, v99
	s_delay_alu instid0(VALU_DEP_1)
	v_and_or_b32 v88, 0xffff0000, v98, v88
	ds_load_b128 v[98:101], v106 offset:4096
	s_wait_dscnt 0x0
	v_lshrrev_b32_e32 v102, 4, v98
	v_lshrrev_b32_e32 v131, 8, v98
	;; [unrolled: 1-line block ×3, first 2 shown]
	v_and_or_b32 v90, v98, 15, 0x4b000000
	v_lshrrev_b32_e32 v135, 12, v99
	v_and_or_b32 v102, v102, 15, 0x4b000000
	v_and_or_b32 v131, v131, 15, 0x4b000000
	;; [unrolled: 1-line block ×3, first 2 shown]
	v_add_f32_e32 v90, 0xcb000008, v90
	v_and_or_b32 v135, v135, 15, 0x4b000000
	s_delay_alu instid0(VALU_DEP_4) | instskip(NEXT) | instid1(VALU_DEP_4)
	v_dual_add_f32 v102, 0xcb000008, v102 :: v_dual_add_f32 v133, 0xcb000008, v131
	v_add_f32_e32 v132, 0xcb000008, v132
	s_delay_alu instid0(VALU_DEP_3) | instskip(NEXT) | instid1(VALU_DEP_3)
	v_add_f32_e32 v136, 0xcb000008, v135
	v_lshrrev_b32_e32 v102, 16, v102
	s_delay_alu instid0(VALU_DEP_1) | instskip(NEXT) | instid1(VALU_DEP_4)
	v_and_or_b32 v131, 0xffff0000, v90, v102
	v_lshrrev_b32_e32 v90, 16, v132
	s_delay_alu instid0(VALU_DEP_1) | instskip(SKIP_1) | instid1(VALU_DEP_1)
	v_and_or_b32 v132, 0xffff0000, v133, v90
	v_ashrrev_i32_e32 v90, 16, v98
	v_lshrrev_b32_e32 v102, 4, v90
	v_and_or_b32 v98, v90, 15, 0x4b000000
	v_lshrrev_b32_e32 v133, 8, v90
	v_lshrrev_b32_e32 v90, 12, v90
	s_delay_alu instid0(VALU_DEP_4) | instskip(NEXT) | instid1(VALU_DEP_4)
	v_and_or_b32 v102, v102, 15, 0x4b000000
	v_add_f32_e32 v98, 0xcb000008, v98
	s_delay_alu instid0(VALU_DEP_4) | instskip(NEXT) | instid1(VALU_DEP_4)
	v_and_or_b32 v133, v133, 15, 0x4b000000
	v_and_or_b32 v90, v90, 15, 0x4b000000
	s_delay_alu instid0(VALU_DEP_4) | instskip(NEXT) | instid1(VALU_DEP_3)
	v_add_f32_e32 v102, 0xcb000008, v102
	v_add_f32_e32 v134, 0xcb000008, v133
	s_delay_alu instid0(VALU_DEP_3) | instskip(NEXT) | instid1(VALU_DEP_3)
	v_add_f32_e32 v90, 0xcb000008, v90
	v_lshrrev_b32_e32 v102, 16, v102
	s_delay_alu instid0(VALU_DEP_2) | instskip(NEXT) | instid1(VALU_DEP_2)
	v_lshrrev_b32_e32 v90, 16, v90
	v_and_or_b32 v133, 0xffff0000, v98, v102
	v_lshrrev_b32_e32 v98, 4, v99
	v_lshrrev_b32_e32 v102, 8, v99
	s_delay_alu instid0(VALU_DEP_4) | instskip(SKIP_1) | instid1(VALU_DEP_4)
	v_and_or_b32 v134, 0xffff0000, v134, v90
	v_and_or_b32 v90, v99, 15, 0x4b000000
	;; [unrolled: 1-line block ×3, first 2 shown]
	s_delay_alu instid0(VALU_DEP_4) | instskip(NEXT) | instid1(VALU_DEP_3)
	v_and_or_b32 v102, v102, 15, 0x4b000000
	v_add_f32_e32 v90, 0xcb000008, v90
	s_delay_alu instid0(VALU_DEP_3) | instskip(NEXT) | instid1(VALU_DEP_3)
	v_add_f32_e32 v98, 0xcb000008, v98
	v_add_f32_e32 v102, 0xcb000008, v102
	s_delay_alu instid0(VALU_DEP_2) | instskip(NEXT) | instid1(VALU_DEP_1)
	v_lshrrev_b32_e32 v98, 16, v98
	v_and_or_b32 v135, 0xffff0000, v90, v98
	v_lshrrev_b32_e32 v90, 16, v136
	s_delay_alu instid0(VALU_DEP_1) | instskip(SKIP_1) | instid1(VALU_DEP_1)
	v_and_or_b32 v136, 0xffff0000, v102, v90
	v_ashrrev_i32_e32 v90, 16, v99
	v_lshrrev_b32_e32 v99, 4, v90
	v_and_or_b32 v98, v90, 15, 0x4b000000
	v_lshrrev_b32_e32 v102, 8, v90
	v_lshrrev_b32_e32 v90, 12, v90
	s_delay_alu instid0(VALU_DEP_4) | instskip(NEXT) | instid1(VALU_DEP_4)
	v_and_or_b32 v99, v99, 15, 0x4b000000
	v_add_f32_e32 v98, 0xcb000008, v98
	s_delay_alu instid0(VALU_DEP_4) | instskip(NEXT) | instid1(VALU_DEP_4)
	v_and_or_b32 v102, v102, 15, 0x4b000000
	v_and_or_b32 v90, v90, 15, 0x4b000000
	s_delay_alu instid0(VALU_DEP_2) | instskip(NEXT) | instid1(VALU_DEP_2)
	v_dual_add_f32 v99, 0xcb000008, v99 :: v_dual_add_f32 v102, 0xcb000008, v102
	v_add_f32_e32 v90, 0xcb000008, v90
	s_delay_alu instid0(VALU_DEP_2) | instskip(NEXT) | instid1(VALU_DEP_2)
	v_lshrrev_b32_e32 v99, 16, v99
	v_lshrrev_b32_e32 v90, 16, v90
	s_delay_alu instid0(VALU_DEP_2) | instskip(SKIP_2) | instid1(VALU_DEP_4)
	v_and_or_b32 v137, 0xffff0000, v98, v99
	v_lshrrev_b32_e32 v98, 4, v100
	v_lshrrev_b32_e32 v99, 8, v100
	v_and_or_b32 v138, 0xffff0000, v102, v90
	v_lshrrev_b32_e32 v102, 12, v100
	v_and_or_b32 v90, v100, 15, 0x4b000000
	v_and_or_b32 v98, v98, 15, 0x4b000000
	;; [unrolled: 1-line block ×3, first 2 shown]
	s_delay_alu instid0(VALU_DEP_4) | instskip(NEXT) | instid1(VALU_DEP_4)
	v_and_or_b32 v102, v102, 15, 0x4b000000
	v_add_f32_e32 v90, 0xcb000008, v90
	s_delay_alu instid0(VALU_DEP_3) | instskip(NEXT) | instid1(VALU_DEP_3)
	v_dual_add_f32 v98, 0xcb000008, v98 :: v_dual_add_f32 v99, 0xcb000008, v99
	v_add_f32_e32 v102, 0xcb000008, v102
	s_delay_alu instid0(VALU_DEP_2) | instskip(NEXT) | instid1(VALU_DEP_1)
	v_lshrrev_b32_e32 v98, 16, v98
	v_and_or_b32 v139, 0xffff0000, v90, v98
	s_delay_alu instid0(VALU_DEP_3) | instskip(NEXT) | instid1(VALU_DEP_1)
	v_lshrrev_b32_e32 v90, 16, v102
	v_and_or_b32 v140, 0xffff0000, v99, v90
	v_ashrrev_i32_e32 v90, 16, v100
	s_delay_alu instid0(VALU_DEP_1) | instskip(SKIP_3) | instid1(VALU_DEP_4)
	v_lshrrev_b32_e32 v99, 4, v90
	v_and_or_b32 v98, v90, 15, 0x4b000000
	v_lshrrev_b32_e32 v100, 8, v90
	v_lshrrev_b32_e32 v90, 12, v90
	v_and_or_b32 v99, v99, 15, 0x4b000000
	s_delay_alu instid0(VALU_DEP_4) | instskip(NEXT) | instid1(VALU_DEP_4)
	v_add_f32_e32 v98, 0xcb000008, v98
	v_and_or_b32 v100, v100, 15, 0x4b000000
	s_delay_alu instid0(VALU_DEP_4) | instskip(NEXT) | instid1(VALU_DEP_2)
	v_and_or_b32 v90, v90, 15, 0x4b000000
	v_dual_add_f32 v99, 0xcb000008, v99 :: v_dual_add_f32 v100, 0xcb000008, v100
	s_delay_alu instid0(VALU_DEP_2) | instskip(NEXT) | instid1(VALU_DEP_2)
	v_add_f32_e32 v90, 0xcb000008, v90
	v_lshrrev_b32_e32 v99, 16, v99
	s_delay_alu instid0(VALU_DEP_2) | instskip(NEXT) | instid1(VALU_DEP_2)
	v_lshrrev_b32_e32 v90, 16, v90
	v_and_or_b32 v141, 0xffff0000, v98, v99
	v_lshrrev_b32_e32 v98, 4, v101
	v_lshrrev_b32_e32 v99, 8, v101
	s_delay_alu instid0(VALU_DEP_4) | instskip(SKIP_4) | instid1(VALU_DEP_4)
	v_and_or_b32 v142, 0xffff0000, v100, v90
	v_lshrrev_b32_e32 v100, 12, v101
	v_and_or_b32 v90, v101, 15, 0x4b000000
	v_and_or_b32 v98, v98, 15, 0x4b000000
	;; [unrolled: 1-line block ×4, first 2 shown]
	s_delay_alu instid0(VALU_DEP_4) | instskip(NEXT) | instid1(VALU_DEP_3)
	v_add_f32_e32 v90, 0xcb000008, v90
	v_dual_add_f32 v98, 0xcb000008, v98 :: v_dual_add_f32 v99, 0xcb000008, v99
	s_delay_alu instid0(VALU_DEP_3) | instskip(NEXT) | instid1(VALU_DEP_2)
	v_add_f32_e32 v100, 0xcb000008, v100
	v_lshrrev_b32_e32 v98, 16, v98
	s_delay_alu instid0(VALU_DEP_1) | instskip(NEXT) | instid1(VALU_DEP_3)
	v_and_or_b32 v98, 0xffff0000, v90, v98
	v_lshrrev_b32_e32 v90, 16, v100
	s_delay_alu instid0(VALU_DEP_1) | instskip(SKIP_1) | instid1(VALU_DEP_1)
	v_and_or_b32 v99, 0xffff0000, v99, v90
	v_ashrrev_i32_e32 v90, 16, v101
	v_and_or_b32 v100, v90, 15, 0x4b000000
	v_lshrrev_b32_e32 v101, 4, v90
	v_lshrrev_b32_e32 v102, 8, v90
	;; [unrolled: 1-line block ×3, first 2 shown]
	s_delay_alu instid0(VALU_DEP_4) | instskip(NEXT) | instid1(VALU_DEP_4)
	v_add_f32_e32 v100, 0xcb000008, v100
	v_and_or_b32 v101, v101, 15, 0x4b000000
	s_delay_alu instid0(VALU_DEP_4) | instskip(NEXT) | instid1(VALU_DEP_4)
	v_and_or_b32 v102, v102, 15, 0x4b000000
	v_and_or_b32 v90, v90, 15, 0x4b000000
	s_delay_alu instid0(VALU_DEP_2) | instskip(NEXT) | instid1(VALU_DEP_2)
	v_dual_add_f32 v101, 0xcb000008, v101 :: v_dual_add_f32 v102, 0xcb000008, v102
	v_add_f32_e32 v90, 0xcb000008, v90
	s_delay_alu instid0(VALU_DEP_2) | instskip(NEXT) | instid1(VALU_DEP_2)
	v_lshrrev_b32_e32 v101, 16, v101
	v_lshrrev_b32_e32 v90, 16, v90
	s_delay_alu instid0(VALU_DEP_2) | instskip(NEXT) | instid1(VALU_DEP_2)
	v_and_or_b32 v100, 0xffff0000, v100, v101
	v_and_or_b32 v101, 0xffff0000, v102, v90
	; sched_barrier mask(0x00000000)
	s_barrier_signal -1
	s_barrier_wait -1
	; sched_barrier mask(0x00000000)
	v_wmma_f32_16x16x16_bf16 v[1:8], v[73:76], v[69:72], v[1:8]
	s_delay_alu instid0(VALU_DEP_1) | instskip(NEXT) | instid1(VALU_DEP_1)
	v_wmma_f32_16x16x16_bf16 v[1:8], v[77:80], v[65:68], v[1:8]
	v_wmma_f32_16x16x16_bf16 v[1:8], v[81:84], v[61:64], v[1:8]
	s_delay_alu instid0(VALU_DEP_1)
	v_wmma_f32_16x16x16_bf16 v[1:8], v[85:88], v[57:60], v[1:8]
	; sched_barrier mask(0x00000000)
	s_setprio 1
	; sched_barrier mask(0x00000000)
	; sched_barrier mask(0x00000000)
	s_wait_dscnt 0x0
	s_barrier_signal -1
	s_barrier_wait -1
	; sched_barrier mask(0x00000000)
	v_wmma_f32_16x16x16_bf16 v[1:8], v[131:134], v[21:24], v[1:8]
	s_delay_alu instid0(VALU_DEP_1) | instskip(NEXT) | instid1(VALU_DEP_1)
	v_wmma_f32_16x16x16_bf16 v[1:8], v[135:138], v[17:20], v[1:8]
	v_wmma_f32_16x16x16_bf16 v[1:8], v[139:142], v[13:16], v[1:8]
	s_delay_alu instid0(VALU_DEP_1)
	v_wmma_f32_16x16x16_bf16 v[1:8], v[98:101], v[9:12], v[1:8]
	; sched_barrier mask(0x00000000)
	s_setprio 0
	; sched_barrier mask(0x00000000)
	v_add_nc_u32_e32 v9, 0x80, v89
	v_lshrrev_b32_e32 v10, 31, v89
	v_add_nc_u32_e64 v57, 6, s21
	v_add_nc_u32_e32 v107, 12, v107
	v_add_nc_u32_e32 v60, v95, v93
	v_lshrrev_b32_e32 v11, 31, v9
	v_add_nc_u32_e32 v10, v89, v10
	v_sub_nc_u32_e32 v57, v57, v97
	v_add3_u32 v59, v96, v94, v127
	v_add_nc_u32_e32 v108, v108, v114
	v_add_nc_u32_e32 v9, v9, v11
	v_ashrrev_i32_e32 v10, 1, v10
	v_mad_co_u64_u32 v[57:58], null, v57, s12, v[89:90]
	v_add_nc_u32_e32 v126, 0x300, v126
	s_delay_alu instid0(VALU_DEP_4)
	v_ashrrev_i32_e32 v13, 1, v9
	v_add_nc_u32_e32 v115, 0x300, v115
	s_clause 0x1
	buffer_load_b128 v[21:24], v129, s[8:11], null offen offset:1280
	buffer_load_b128 v[17:20], v130, s[8:11], null offen
	s_clause 0x1
	buffer_load_b128 v[9:12], v10, s[0:3], null offen
	buffer_load_b128 v[13:16], v13, s[0:3], null offen
	v_lshrrev_b32_e32 v58, 2, v107
	s_add_co_i32 s21, s21, 3
	v_add_nc_u32_e32 v61, v60, v91
	s_wait_alu 0xfffe
	s_cmp_lt_i32 s21, s7
	s_wait_loadcnt 0x8
	ds_store_b128 v60, v[25:28]
	ds_store_b128 v61, v[29:32]
	ds_store_b128 v92, v[33:36] offset:4096
	ds_store_b128 v128, v[37:40] offset:4096
	s_cbranch_scc1 .LBB5_12
; %bb.13:
	s_wait_dscnt 0x0
	s_barrier_signal -1
	s_barrier_wait -1
	s_wait_loadcnt 0x2
	ds_load_b128 v[17:20], v124 offset:4096
	ds_load_b128 v[21:24], v111
	ds_load_b128 v[25:28], v116
	;; [unrolled: 1-line block ×6, first 2 shown]
	s_wait_loadcnt 0x0
	ds_load_b128 v[13:16], v121
	ds_load_b128 v[9:12], v122
	ds_load_b128 v[45:48], v106 offset:4096
	s_lshl_b64 s[0:1], s[18:19], 1
	s_delay_alu instid0(SALU_CYCLE_1)
	s_add_nc_u64 s[2:3], s[16:17], s[0:1]
	s_wait_dscnt 0x9
	v_and_or_b32 v49, v17, 15, 0x4b000000
	v_lshrrev_b32_e32 v50, 4, v17
	v_lshrrev_b32_e32 v51, 8, v17
	;; [unrolled: 1-line block ×3, first 2 shown]
	v_ashrrev_i32_e32 v17, 16, v17
	v_lshrrev_b32_e32 v53, 4, v18
	v_and_or_b32 v50, v50, 15, 0x4b000000
	v_and_or_b32 v51, v51, 15, 0x4b000000
	;; [unrolled: 1-line block ×3, first 2 shown]
	v_lshrrev_b32_e32 v56, 4, v17
	s_delay_alu instid0(VALU_DEP_4) | instskip(NEXT) | instid1(VALU_DEP_3)
	v_dual_add_f32 v49, 0xcb000008, v49 :: v_dual_add_f32 v50, 0xcb000008, v50
	v_dual_add_f32 v51, 0xcb000008, v51 :: v_dual_add_f32 v52, 0xcb000008, v52
	s_delay_alu instid0(VALU_DEP_3) | instskip(SKIP_1) | instid1(VALU_DEP_4)
	v_and_or_b32 v56, v56, 15, 0x4b000000
	v_and_or_b32 v57, v17, 15, 0x4b000000
	v_lshrrev_b32_e32 v50, 16, v50
	v_lshrrev_b32_e32 v54, 8, v18
	;; [unrolled: 1-line block ×3, first 2 shown]
	s_delay_alu instid0(VALU_DEP_4) | instskip(SKIP_3) | instid1(VALU_DEP_4)
	v_dual_add_f32 v56, 0xcb000008, v56 :: v_dual_add_f32 v57, 0xcb000008, v57
	v_lshrrev_b32_e32 v55, 12, v18
	v_lshrrev_b32_e32 v58, 8, v17
	;; [unrolled: 1-line block ×4, first 2 shown]
	v_and_or_b32 v49, 0xffff0000, v49, v50
	v_and_or_b32 v50, 0xffff0000, v51, v52
	;; [unrolled: 1-line block ×4, first 2 shown]
	v_ashrrev_i32_e32 v18, 16, v18
	v_and_or_b32 v17, v17, 15, 0x4b000000
	v_and_or_b32 v51, 0xffff0000, v57, v56
	;; [unrolled: 1-line block ×3, first 2 shown]
	v_add_f32_e32 v56, 0xcb000008, v52
	v_add_f32_e32 v52, 0xcb000008, v53
	v_lshrrev_b32_e32 v53, 4, v18
	v_lshrrev_b32_e32 v57, 12, v18
	v_and_or_b32 v58, v58, 15, 0x4b000000
	v_add_f32_e32 v17, 0xcb000008, v17
	v_and_or_b32 v54, v54, 15, 0x4b000000
	v_lshrrev_b32_e32 v59, 8, v18
	v_and_or_b32 v53, v53, 15, 0x4b000000
	v_and_or_b32 v57, v57, 15, 0x4b000000
	v_add_f32_e32 v58, 0xcb000008, v58
	v_lshrrev_b32_e32 v17, 16, v17
	s_delay_alu instid0(VALU_DEP_4)
	v_dual_add_f32 v54, 0xcb000008, v54 :: v_dual_add_f32 v53, 0xcb000008, v53
	v_add_f32_e32 v55, 0xcb000008, v55
	v_lshrrev_b32_e32 v60, 16, v52
	v_and_or_b32 v18, v18, 15, 0x4b000000
	v_and_or_b32 v52, v59, 15, 0x4b000000
	v_add_f32_e32 v57, 0xcb000008, v57
	v_lshrrev_b32_e32 v55, 16, v55
	v_lshrrev_b32_e32 v61, 16, v53
	s_delay_alu instid0(VALU_DEP_4) | instskip(NEXT) | instid1(VALU_DEP_4)
	v_dual_add_f32 v18, 0xcb000008, v18 :: v_dual_add_f32 v59, 0xcb000008, v52
	v_lshrrev_b32_e32 v57, 16, v57
	v_and_or_b32 v52, 0xffff0000, v58, v17
	v_and_or_b32 v58, v19, 15, 0x4b000000
	;; [unrolled: 1-line block ×5, first 2 shown]
	v_lshrrev_b32_e32 v17, 4, v19
	v_lshrrev_b32_e32 v18, 8, v19
	v_add_f32_e32 v58, 0xcb000008, v58
	v_and_or_b32 v56, 0xffff0000, v59, v57
	v_lshrrev_b32_e32 v57, 12, v19
	v_ashrrev_i32_e32 v19, 16, v19
	v_and_or_b32 v17, v17, 15, 0x4b000000
	v_and_or_b32 v18, v18, 15, 0x4b000000
	s_wait_dscnt 0x0
	v_and_or_b32 v65, v45, 15, 0x4b000000
	v_and_or_b32 v57, v57, 15, 0x4b000000
	v_lshrrev_b32_e32 v60, 12, v19
	v_dual_add_f32 v17, 0xcb000008, v17 :: v_dual_add_f32 v18, 0xcb000008, v18
	v_lshrrev_b32_e32 v59, 4, v19
	v_lshrrev_b32_e32 v61, 8, v19
	s_delay_alu instid0(VALU_DEP_4)
	v_and_or_b32 v60, v60, 15, 0x4b000000
	v_add_f32_e32 v57, 0xcb000008, v57
	v_lshrrev_b32_e32 v17, 16, v17
	v_and_or_b32 v59, v59, 15, 0x4b000000
	v_and_or_b32 v61, v61, 15, 0x4b000000
	v_add_f32_e32 v60, 0xcb000008, v60
	v_lshrrev_b32_e32 v62, 16, v57
	v_and_or_b32 v57, 0xffff0000, v58, v17
	;; [unrolled: 4-line block ×3, first 2 shown]
	v_lshrrev_b32_e32 v18, 8, v20
	v_add_f32_e32 v19, 0xcb000008, v19
	v_lshrrev_b32_e32 v59, 16, v59
	v_lshrrev_b32_e32 v17, 4, v20
	v_and_or_b32 v74, v48, 15, 0x4b000000
	v_and_or_b32 v18, v18, 15, 0x4b000000
	v_add_f32_e32 v61, 0xcb000008, v61
	v_and_or_b32 v59, 0xffff0000, v19, v59
	v_lshrrev_b32_e32 v19, 12, v20
	v_and_or_b32 v17, v17, 15, 0x4b000000
	v_add_f32_e32 v18, 0xcb000008, v18
	v_and_or_b32 v60, 0xffff0000, v61, v60
	v_ashrrev_i32_e32 v61, 16, v20
	v_and_or_b32 v19, v19, 15, 0x4b000000
	v_and_or_b32 v20, v20, 15, 0x4b000000
	v_add_f32_e32 v74, 0xcb000008, v74
	s_delay_alu instid0(VALU_DEP_4) | instskip(NEXT) | instid1(VALU_DEP_4)
	v_lshrrev_b32_e32 v62, 4, v61
	v_add_f32_e32 v19, 0xcb000008, v19
	v_lshrrev_b32_e32 v63, 12, v61
	v_lshrrev_b32_e32 v64, 8, v61
	v_and_or_b32 v61, v61, 15, 0x4b000000
	v_and_or_b32 v62, v62, 15, 0x4b000000
	v_dual_add_f32 v17, 0xcb000008, v17 :: v_dual_add_f32 v20, 0xcb000008, v20
	v_lshrrev_b32_e32 v19, 16, v19
	v_and_or_b32 v63, v63, 15, 0x4b000000
	s_delay_alu instid0(VALU_DEP_4) | instskip(NEXT) | instid1(VALU_DEP_4)
	v_add_f32_e32 v62, 0xcb000008, v62
	v_lshrrev_b32_e32 v17, 16, v17
	v_and_or_b32 v64, v64, 15, 0x4b000000
	v_add_f32_e32 v61, 0xcb000008, v61
	v_and_or_b32 v18, 0xffff0000, v18, v19
	v_lshrrev_b32_e32 v62, 16, v62
	v_and_or_b32 v17, 0xffff0000, v20, v17
	v_dual_add_f32 v20, 0xcb000008, v63 :: v_dual_add_f32 v63, 0xcb000008, v64
	v_lshrrev_b32_e32 v64, 12, v45
	s_delay_alu instid0(VALU_DEP_4)
	v_and_or_b32 v19, 0xffff0000, v61, v62
	v_lshrrev_b32_e32 v61, 4, v45
	v_lshrrev_b32_e32 v62, 8, v45
	v_ashrrev_i32_e32 v45, 16, v45
	v_and_or_b32 v64, v64, 15, 0x4b000000
	v_add_f32_e32 v65, 0xcb000008, v65
	v_and_or_b32 v61, v61, 15, 0x4b000000
	v_and_or_b32 v62, v62, 15, 0x4b000000
	v_lshrrev_b32_e32 v68, 8, v45
	v_lshrrev_b32_e32 v66, 4, v45
	;; [unrolled: 1-line block ×3, first 2 shown]
	v_add_f32_e32 v64, 0xcb000008, v64
	v_and_or_b32 v45, v45, 15, 0x4b000000
	v_and_or_b32 v68, v68, 15, 0x4b000000
	v_add_f32_e32 v61, 0xcb000008, v61
	v_and_or_b32 v66, v66, 15, 0x4b000000
	v_and_or_b32 v67, v67, 15, 0x4b000000
	v_lshrrev_b32_e32 v20, 16, v20
	v_add_f32_e32 v68, 0xcb000008, v68
	v_lshrrev_b32_e32 v61, 16, v61
	v_add_f32_e32 v66, 0xcb000008, v66
	v_add_f32_e32 v62, 0xcb000008, v62
	v_lshrrev_b32_e32 v64, 16, v64
	v_add_f32_e32 v45, 0xcb000008, v45
	v_and_or_b32 v61, 0xffff0000, v65, v61
	v_lshrrev_b32_e32 v65, 8, v46
	v_lshrrev_b32_e32 v66, 16, v66
	v_and_or_b32 v20, 0xffff0000, v63, v20
	v_and_or_b32 v62, 0xffff0000, v62, v64
	s_delay_alu instid0(VALU_DEP_4)
	v_and_or_b32 v65, v65, 15, 0x4b000000
	v_add_f32_e32 v67, 0xcb000008, v67
	v_and_or_b32 v63, 0xffff0000, v45, v66
	v_lshrrev_b32_e32 v45, 4, v46
	v_lshrrev_b32_e32 v66, 12, v46
	v_add_f32_e32 v70, 0xcb000008, v65
	v_lshrrev_b32_e32 v67, 16, v67
	s_delay_alu instid0(VALU_DEP_4) | instskip(NEXT) | instid1(VALU_DEP_4)
	v_and_or_b32 v45, v45, 15, 0x4b000000
	v_and_or_b32 v66, v66, 15, 0x4b000000
	s_delay_alu instid0(VALU_DEP_3) | instskip(SKIP_2) | instid1(VALU_DEP_4)
	v_and_or_b32 v64, 0xffff0000, v68, v67
	v_and_or_b32 v67, v46, 15, 0x4b000000
	v_ashrrev_i32_e32 v46, 16, v46
	v_add_f32_e32 v65, 0xcb000008, v66
	s_delay_alu instid0(VALU_DEP_2) | instskip(SKIP_1) | instid1(VALU_DEP_3)
	v_lshrrev_b32_e32 v68, 4, v46
	v_lshrrev_b32_e32 v69, 12, v46
	;; [unrolled: 1-line block ×3, first 2 shown]
	s_delay_alu instid0(VALU_DEP_3)
	v_and_or_b32 v66, v68, 15, 0x4b000000
	v_lshrrev_b32_e32 v68, 8, v46
	v_and_or_b32 v46, v46, 15, 0x4b000000
	v_add_f32_e32 v67, 0xcb000008, v67
	v_and_or_b32 v69, v69, 15, 0x4b000000
	v_add_f32_e32 v66, 0xcb000008, v66
	v_and_or_b32 v68, v68, 15, 0x4b000000
	v_dual_add_f32 v45, 0xcb000008, v45 :: v_dual_add_f32 v46, 0xcb000008, v46
	s_delay_alu instid0(VALU_DEP_3) | instskip(NEXT) | instid1(VALU_DEP_3)
	v_lshrrev_b32_e32 v72, 16, v66
	v_add_f32_e32 v68, 0xcb000008, v68
	s_delay_alu instid0(VALU_DEP_3) | instskip(SKIP_2) | instid1(VALU_DEP_3)
	v_lshrrev_b32_e32 v45, 16, v45
	v_and_or_b32 v66, 0xffff0000, v70, v71
	v_ashrrev_i32_e32 v70, 16, v47
	v_and_or_b32 v65, 0xffff0000, v67, v45
	v_and_or_b32 v67, 0xffff0000, v46, v72
	v_lshrrev_b32_e32 v46, 8, v47
	v_lshrrev_b32_e32 v45, 4, v47
	;; [unrolled: 1-line block ×5, first 2 shown]
	v_and_or_b32 v46, v46, 15, 0x4b000000
	v_add_f32_e32 v69, 0xcb000008, v69
	v_and_or_b32 v45, v45, 15, 0x4b000000
	v_and_or_b32 v71, v71, 15, 0x4b000000
	v_and_or_b32 v70, v70, 15, 0x4b000000
	v_add_f32_e32 v46, 0xcb000008, v46
	v_lshrrev_b32_e32 v69, 16, v69
	v_add_f32_e32 v45, 0xcb000008, v45
	s_delay_alu instid0(VALU_DEP_4) | instskip(SKIP_1) | instid1(VALU_DEP_4)
	v_dual_add_f32 v71, 0xcb000008, v71 :: v_dual_add_f32 v70, 0xcb000008, v70
	v_and_or_b32 v72, v72, 15, 0x4b000000
	v_and_or_b32 v68, 0xffff0000, v68, v69
	v_lshrrev_b32_e32 v69, 12, v47
	v_and_or_b32 v47, v47, 15, 0x4b000000
	v_lshrrev_b32_e32 v45, 16, v45
	v_lshrrev_b32_e32 v71, 16, v71
	v_and_or_b32 v73, v73, 15, 0x4b000000
	v_and_or_b32 v69, v69, 15, 0x4b000000
	v_dual_add_f32 v47, 0xcb000008, v47 :: v_dual_add_f32 v72, 0xcb000008, v72
	s_delay_alu instid0(VALU_DEP_1) | instskip(SKIP_2) | instid1(VALU_DEP_4)
	v_and_or_b32 v45, 0xffff0000, v47, v45
	v_and_or_b32 v47, 0xffff0000, v70, v71
	v_lshrrev_b32_e32 v70, 4, v48
	v_lshrrev_b32_e32 v71, 16, v72
	;; [unrolled: 1-line block ×3, first 2 shown]
	s_delay_alu instid0(VALU_DEP_3) | instskip(SKIP_1) | instid1(VALU_DEP_3)
	v_and_or_b32 v70, v70, 15, 0x4b000000
	v_add_f32_e32 v69, 0xcb000008, v69
	v_and_or_b32 v72, v72, 15, 0x4b000000
	s_delay_alu instid0(VALU_DEP_3) | instskip(NEXT) | instid1(VALU_DEP_3)
	v_add_f32_e32 v70, 0xcb000008, v70
	v_lshrrev_b32_e32 v69, 16, v69
	s_delay_alu instid0(VALU_DEP_3) | instskip(NEXT) | instid1(VALU_DEP_3)
	v_add_f32_e32 v72, 0xcb000008, v72
	v_lshrrev_b32_e32 v70, 16, v70
	s_delay_alu instid0(VALU_DEP_3) | instskip(SKIP_3) | instid1(VALU_DEP_2)
	v_and_or_b32 v46, 0xffff0000, v46, v69
	v_add_f32_e32 v69, 0xcb000008, v73
	v_lshrrev_b32_e32 v73, 12, v48
	v_ashrrev_i32_e32 v48, 16, v48
	v_and_or_b32 v73, v73, 15, 0x4b000000
	s_delay_alu instid0(VALU_DEP_2)
	v_lshrrev_b32_e32 v75, 4, v48
	v_lshrrev_b32_e32 v76, 12, v48
	;; [unrolled: 1-line block ×3, first 2 shown]
	v_and_or_b32 v48, v48, 15, 0x4b000000
	v_add_f32_e32 v73, 0xcb000008, v73
	v_and_or_b32 v75, v75, 15, 0x4b000000
	v_and_or_b32 v76, v76, 15, 0x4b000000
	;; [unrolled: 1-line block ×3, first 2 shown]
	v_add_f32_e32 v78, 0xcb000008, v48
	v_lshrrev_b32_e32 v73, 16, v73
	s_delay_alu instid0(VALU_DEP_4) | instskip(NEXT) | instid1(VALU_DEP_4)
	v_dual_add_f32 v75, 0xcb000008, v75 :: v_dual_add_f32 v76, 0xcb000008, v76
	v_add_f32_e32 v77, 0xcb000008, v77
	v_and_or_b32 v48, 0xffff0000, v69, v71
	v_and_or_b32 v69, 0xffff0000, v74, v70
	s_delay_alu instid0(VALU_DEP_4) | instskip(SKIP_2) | instid1(VALU_DEP_3)
	v_lshrrev_b32_e32 v75, 16, v75
	v_lshrrev_b32_e32 v76, 16, v76
	v_and_or_b32 v70, 0xffff0000, v72, v73
	v_and_or_b32 v71, 0xffff0000, v78, v75
	s_delay_alu instid0(VALU_DEP_3) | instskip(SKIP_3) | instid1(VALU_DEP_1)
	v_and_or_b32 v72, 0xffff0000, v77, v76
	; sched_barrier mask(0x00000000)
	s_barrier_signal -1
	s_barrier_wait -1
	; sched_barrier mask(0x00000000)
	v_wmma_f32_16x16x16_bf16 v[1:8], v[49:52], v[21:24], v[1:8]
	v_wmma_f32_16x16x16_bf16 v[1:8], v[53:56], v[25:28], v[1:8]
	s_delay_alu instid0(VALU_DEP_1) | instskip(NEXT) | instid1(VALU_DEP_1)
	v_wmma_f32_16x16x16_bf16 v[1:8], v[57:60], v[29:32], v[1:8]
	v_wmma_f32_16x16x16_bf16 v[1:8], v[17:20], v[33:36], v[1:8]
	; sched_barrier mask(0x00000000)
	s_setprio 1
	; sched_barrier mask(0x00000000)
	; sched_barrier mask(0x00000000)
	s_wait_dscnt 0x0
	s_barrier_signal -1
	s_barrier_wait -1
	; sched_barrier mask(0x00000000)
	v_wmma_f32_16x16x16_bf16 v[1:8], v[61:64], v[37:40], v[1:8]
	s_delay_alu instid0(VALU_DEP_1) | instskip(NEXT) | instid1(VALU_DEP_1)
	v_wmma_f32_16x16x16_bf16 v[1:8], v[65:68], v[41:44], v[1:8]
	v_wmma_f32_16x16x16_bf16 v[1:8], v[45:48], v[13:16], v[1:8]
	s_delay_alu instid0(VALU_DEP_1) | instskip(SKIP_1) | instid1(VALU_DEP_1)
	v_wmma_f32_16x16x16_bf16 v[1:8], v[69:72], v[9:12], v[1:8]
	; sched_barrier mask(0x00000000)
	s_setprio 0
	; sched_barrier mask(0x00000000)
	v_bfe_u32 v12, v1, 16, 1
	v_or_b32_e32 v13, 0x400000, v1
	s_delay_alu instid0(VALU_DEP_3)
	v_bfe_u32 v16, v3, 16, 1
	v_cmp_u_f32_e32 vcc_lo, v1, v1
	v_bfe_u32 v20, v5, 16, 1
	v_add3_u32 v12, v12, v1, 0x7fff
	v_lshlrev_b32_e32 v9, 3, v0
	v_lshlrev_b32_e32 v0, 7, v0
	v_add3_u32 v16, v16, v3, 0x7fff
	v_or_b32_e32 v18, 0x400000, v3
	v_cndmask_b32_e32 v12, v12, v13, vcc_lo
	v_cmp_u_f32_e32 vcc_lo, v3, v3
	v_add3_u32 v3, v20, v5, 0x7fff
	v_and_b32_e32 v14, 56, v9
	v_lshl_or_b32 v11, s15, 4, v103
	s_wait_alu 0xfffd
	v_dual_cndmask_b32 v16, v16, v18 :: v_dual_and_b32 v17, 0x780, v0
	v_or_b32_e32 v19, 0x400000, v4
	v_or_b32_e32 v9, s6, v14
	v_cmp_u_f32_e32 vcc_lo, v4, v4
	v_and_b32_e32 v10, 56, v104
	v_bfe_u32 v18, v6, 16, 1
	v_bfe_u32 v20, v8, 16, 1
	;; [unrolled: 1-line block ×3, first 2 shown]
	v_or_b32_e32 v21, 0x400000, v6
	v_mad_co_u64_u32 v[0:1], null, v11, s13, v[9:10]
	v_bfe_u32 v1, v4, 16, 1
	s_delay_alu instid0(VALU_DEP_4)
	v_add3_u32 v13, v15, v2, 0x7fff
	v_or_b32_e32 v15, 0x400000, v2
	v_cmp_gt_i32_e64 s0, s5, v9
	s_wait_dscnt 0x0
	v_add3_u32 v1, v1, v4, 0x7fff
	v_or_b32_e32 v4, 0x400000, v5
	s_barrier_signal -1
	s_barrier_wait -1
	s_wait_alu 0xfffd
	v_cndmask_b32_e32 v1, v1, v19, vcc_lo
	v_bfe_u32 v19, v7, 16, 1
	v_cmp_u_f32_e32 vcc_lo, v5, v5
	v_lshl_or_b32 v10, v10, 1, v17
	s_delay_alu instid0(VALU_DEP_3)
	v_add3_u32 v5, v19, v7, 0x7fff
	s_wait_alu 0xfffd
	v_cndmask_b32_e32 v3, v3, v4, vcc_lo
	v_add3_u32 v4, v18, v6, 0x7fff
	v_or_b32_e32 v18, 0x400000, v7
	v_cmp_u_f32_e32 vcc_lo, v7, v7
	v_add3_u32 v19, v20, v8, 0x7fff
	v_or_b32_e32 v20, 0x400000, v8
	s_wait_alu 0xfffd
	v_cndmask_b32_e32 v5, v5, v18, vcc_lo
	v_cmp_u_f32_e32 vcc_lo, v8, v8
	s_wait_alu 0xfffd
	v_cndmask_b32_e32 v7, v19, v20, vcc_lo
	v_cmp_u_f32_e32 vcc_lo, v6, v6
	;; [unrolled: 3-line block ×3, first 2 shown]
	v_perm_b32 v4, v7, v5, 0x7060302
	v_perm_b32 v2, v1, v16, 0x7060302
	v_lshl_or_b32 v5, v103, 6, v14
	v_perm_b32 v3, v6, v3, 0x7060302
	s_wait_alu 0xfffd
	v_cndmask_b32_e32 v8, v13, v15, vcc_lo
	v_cmp_gt_i32_e32 vcc_lo, s4, v11
	s_delay_alu instid0(VALU_DEP_2)
	v_perm_b32 v1, v8, v12, 0x7060302
	s_and_b32 s0, vcc_lo, s0
	ds_store_b128 v10, v[1:4]
	v_ashrrev_i32_e32 v1, 31, v0
	v_lshlrev_b32_e32 v2, 1, v5
	s_wait_dscnt 0x0
	s_barrier_signal -1
	s_barrier_wait -1
	s_and_saveexec_b32 s1, s0
	s_cbranch_execz .LBB5_15
; %bb.14:
	ds_load_b64 v[3:4], v2
	v_lshlrev_b64_e32 v[5:6], 1, v[0:1]
	s_delay_alu instid0(VALU_DEP_1) | instskip(NEXT) | instid1(VALU_DEP_1)
	v_add_co_u32 v5, s0, s2, v5
	v_add_co_ci_u32_e64 v6, null, s3, v6, s0
	s_wait_dscnt 0x0
	s_clause 0x1
	global_atomic_pk_add_bf16 v[5:6], v3, off scope:SCOPE_DEV
	global_atomic_pk_add_bf16 v[5:6], v4, off offset:4 scope:SCOPE_DEV
.LBB5_15:
	s_or_b32 exec_lo, exec_lo, s1
	v_or_b32_e32 v3, 4, v9
	s_delay_alu instid0(VALU_DEP_1)
	v_cmp_gt_i32_e64 s0, s5, v3
	s_and_b32 s0, vcc_lo, s0
	s_wait_alu 0xfffe
	s_and_saveexec_b32 s1, s0
	s_cbranch_execz .LBB5_17
; %bb.16:
	ds_load_b64 v[2:3], v2 offset:8
	v_lshlrev_b64_e32 v[0:1], 1, v[0:1]
	s_delay_alu instid0(VALU_DEP_1) | instskip(SKIP_1) | instid1(VALU_DEP_2)
	v_add_co_u32 v0, vcc_lo, s2, v0
	s_wait_alu 0xfffd
	v_add_co_ci_u32_e64 v1, null, s3, v1, vcc_lo
	s_wait_dscnt 0x0
	s_clause 0x1
	global_atomic_pk_add_bf16 v[0:1], v2, off offset:8 scope:SCOPE_DEV
	global_atomic_pk_add_bf16 v[0:1], v3, off offset:12 scope:SCOPE_DEV
.LBB5_17:
	s_nop 0
	s_sendmsg sendmsg(MSG_DEALLOC_VGPRS)
	s_endpgm
	.section	.rodata,"a",@progbits
	.p2align	6, 0x0
	.amdhsa_kernel _ZN2ck27kernel_gemm_xdl_cshuffle_v3INS_28GridwiseGemm_xdl_cshuffle_v3INS_13tensor_layout4gemm8RowMajorENS3_11ColumnMajorES4_DF16bNS_7pk_i4_tEfDF16bDF16bNS_16tensor_operation12element_wise11PassThroughES9_S9_LNS7_6device18GemmSpecializationE0ELi128ELi16ELi64ELi128ELi8ELi32ELi16ELi16ELi1ELi1ENS_8SequenceIJLi16ELi8ELi1EEEENSC_IJLi1ELi0ELi2EEEESE_Li2ELi8ELi8ELb0ELi0ENSC_IJLi4ELi32ELi1EEEESE_SE_Li2ELi32ELi32ELb0ELi0ELi1ELi1ENSC_IJLi1ELi16ELi1ELi8EEEELi4ELNS_26BlockGemmPipelineSchedulerE1ELNS_24BlockGemmPipelineVersionE1EDF16bDF16bLb0ELb1ELb0ELi0ELb0EEELb1ELNS_25InMemoryDataOperationEnumE1ELi2ELNS_10TailNumberE2EEEvNT_8ArgumentE
		.amdhsa_group_segment_fixed_size 8192
		.amdhsa_private_segment_fixed_size 0
		.amdhsa_kernarg_size 112
		.amdhsa_user_sgpr_count 2
		.amdhsa_user_sgpr_dispatch_ptr 0
		.amdhsa_user_sgpr_queue_ptr 0
		.amdhsa_user_sgpr_kernarg_segment_ptr 1
		.amdhsa_user_sgpr_dispatch_id 0
		.amdhsa_user_sgpr_private_segment_size 0
		.amdhsa_wavefront_size32 1
		.amdhsa_uses_dynamic_stack 0
		.amdhsa_enable_private_segment 0
		.amdhsa_system_sgpr_workgroup_id_x 1
		.amdhsa_system_sgpr_workgroup_id_y 0
		.amdhsa_system_sgpr_workgroup_id_z 1
		.amdhsa_system_sgpr_workgroup_info 0
		.amdhsa_system_vgpr_workitem_id 0
		.amdhsa_next_free_vgpr 143
		.amdhsa_next_free_sgpr 29
		.amdhsa_reserve_vcc 1
		.amdhsa_float_round_mode_32 0
		.amdhsa_float_round_mode_16_64 0
		.amdhsa_float_denorm_mode_32 3
		.amdhsa_float_denorm_mode_16_64 3
		.amdhsa_fp16_overflow 0
		.amdhsa_workgroup_processor_mode 1
		.amdhsa_memory_ordered 1
		.amdhsa_forward_progress 1
		.amdhsa_inst_pref_size 100
		.amdhsa_round_robin_scheduling 0
		.amdhsa_exception_fp_ieee_invalid_op 0
		.amdhsa_exception_fp_denorm_src 0
		.amdhsa_exception_fp_ieee_div_zero 0
		.amdhsa_exception_fp_ieee_overflow 0
		.amdhsa_exception_fp_ieee_underflow 0
		.amdhsa_exception_fp_ieee_inexact 0
		.amdhsa_exception_int_div_zero 0
	.end_amdhsa_kernel
	.section	.text._ZN2ck27kernel_gemm_xdl_cshuffle_v3INS_28GridwiseGemm_xdl_cshuffle_v3INS_13tensor_layout4gemm8RowMajorENS3_11ColumnMajorES4_DF16bNS_7pk_i4_tEfDF16bDF16bNS_16tensor_operation12element_wise11PassThroughES9_S9_LNS7_6device18GemmSpecializationE0ELi128ELi16ELi64ELi128ELi8ELi32ELi16ELi16ELi1ELi1ENS_8SequenceIJLi16ELi8ELi1EEEENSC_IJLi1ELi0ELi2EEEESE_Li2ELi8ELi8ELb0ELi0ENSC_IJLi4ELi32ELi1EEEESE_SE_Li2ELi32ELi32ELb0ELi0ELi1ELi1ENSC_IJLi1ELi16ELi1ELi8EEEELi4ELNS_26BlockGemmPipelineSchedulerE1ELNS_24BlockGemmPipelineVersionE1EDF16bDF16bLb0ELb1ELb0ELi0ELb0EEELb1ELNS_25InMemoryDataOperationEnumE1ELi2ELNS_10TailNumberE2EEEvNT_8ArgumentE,"axG",@progbits,_ZN2ck27kernel_gemm_xdl_cshuffle_v3INS_28GridwiseGemm_xdl_cshuffle_v3INS_13tensor_layout4gemm8RowMajorENS3_11ColumnMajorES4_DF16bNS_7pk_i4_tEfDF16bDF16bNS_16tensor_operation12element_wise11PassThroughES9_S9_LNS7_6device18GemmSpecializationE0ELi128ELi16ELi64ELi128ELi8ELi32ELi16ELi16ELi1ELi1ENS_8SequenceIJLi16ELi8ELi1EEEENSC_IJLi1ELi0ELi2EEEESE_Li2ELi8ELi8ELb0ELi0ENSC_IJLi4ELi32ELi1EEEESE_SE_Li2ELi32ELi32ELb0ELi0ELi1ELi1ENSC_IJLi1ELi16ELi1ELi8EEEELi4ELNS_26BlockGemmPipelineSchedulerE1ELNS_24BlockGemmPipelineVersionE1EDF16bDF16bLb0ELb1ELb0ELi0ELb0EEELb1ELNS_25InMemoryDataOperationEnumE1ELi2ELNS_10TailNumberE2EEEvNT_8ArgumentE,comdat
.Lfunc_end5:
	.size	_ZN2ck27kernel_gemm_xdl_cshuffle_v3INS_28GridwiseGemm_xdl_cshuffle_v3INS_13tensor_layout4gemm8RowMajorENS3_11ColumnMajorES4_DF16bNS_7pk_i4_tEfDF16bDF16bNS_16tensor_operation12element_wise11PassThroughES9_S9_LNS7_6device18GemmSpecializationE0ELi128ELi16ELi64ELi128ELi8ELi32ELi16ELi16ELi1ELi1ENS_8SequenceIJLi16ELi8ELi1EEEENSC_IJLi1ELi0ELi2EEEESE_Li2ELi8ELi8ELb0ELi0ENSC_IJLi4ELi32ELi1EEEESE_SE_Li2ELi32ELi32ELb0ELi0ELi1ELi1ENSC_IJLi1ELi16ELi1ELi8EEEELi4ELNS_26BlockGemmPipelineSchedulerE1ELNS_24BlockGemmPipelineVersionE1EDF16bDF16bLb0ELb1ELb0ELi0ELb0EEELb1ELNS_25InMemoryDataOperationEnumE1ELi2ELNS_10TailNumberE2EEEvNT_8ArgumentE, .Lfunc_end5-_ZN2ck27kernel_gemm_xdl_cshuffle_v3INS_28GridwiseGemm_xdl_cshuffle_v3INS_13tensor_layout4gemm8RowMajorENS3_11ColumnMajorES4_DF16bNS_7pk_i4_tEfDF16bDF16bNS_16tensor_operation12element_wise11PassThroughES9_S9_LNS7_6device18GemmSpecializationE0ELi128ELi16ELi64ELi128ELi8ELi32ELi16ELi16ELi1ELi1ENS_8SequenceIJLi16ELi8ELi1EEEENSC_IJLi1ELi0ELi2EEEESE_Li2ELi8ELi8ELb0ELi0ENSC_IJLi4ELi32ELi1EEEESE_SE_Li2ELi32ELi32ELb0ELi0ELi1ELi1ENSC_IJLi1ELi16ELi1ELi8EEEELi4ELNS_26BlockGemmPipelineSchedulerE1ELNS_24BlockGemmPipelineVersionE1EDF16bDF16bLb0ELb1ELb0ELi0ELb0EEELb1ELNS_25InMemoryDataOperationEnumE1ELi2ELNS_10TailNumberE2EEEvNT_8ArgumentE
                                        ; -- End function
	.set _ZN2ck27kernel_gemm_xdl_cshuffle_v3INS_28GridwiseGemm_xdl_cshuffle_v3INS_13tensor_layout4gemm8RowMajorENS3_11ColumnMajorES4_DF16bNS_7pk_i4_tEfDF16bDF16bNS_16tensor_operation12element_wise11PassThroughES9_S9_LNS7_6device18GemmSpecializationE0ELi128ELi16ELi64ELi128ELi8ELi32ELi16ELi16ELi1ELi1ENS_8SequenceIJLi16ELi8ELi1EEEENSC_IJLi1ELi0ELi2EEEESE_Li2ELi8ELi8ELb0ELi0ENSC_IJLi4ELi32ELi1EEEESE_SE_Li2ELi32ELi32ELb0ELi0ELi1ELi1ENSC_IJLi1ELi16ELi1ELi8EEEELi4ELNS_26BlockGemmPipelineSchedulerE1ELNS_24BlockGemmPipelineVersionE1EDF16bDF16bLb0ELb1ELb0ELi0ELb0EEELb1ELNS_25InMemoryDataOperationEnumE1ELi2ELNS_10TailNumberE2EEEvNT_8ArgumentE.num_vgpr, 143
	.set _ZN2ck27kernel_gemm_xdl_cshuffle_v3INS_28GridwiseGemm_xdl_cshuffle_v3INS_13tensor_layout4gemm8RowMajorENS3_11ColumnMajorES4_DF16bNS_7pk_i4_tEfDF16bDF16bNS_16tensor_operation12element_wise11PassThroughES9_S9_LNS7_6device18GemmSpecializationE0ELi128ELi16ELi64ELi128ELi8ELi32ELi16ELi16ELi1ELi1ENS_8SequenceIJLi16ELi8ELi1EEEENSC_IJLi1ELi0ELi2EEEESE_Li2ELi8ELi8ELb0ELi0ENSC_IJLi4ELi32ELi1EEEESE_SE_Li2ELi32ELi32ELb0ELi0ELi1ELi1ENSC_IJLi1ELi16ELi1ELi8EEEELi4ELNS_26BlockGemmPipelineSchedulerE1ELNS_24BlockGemmPipelineVersionE1EDF16bDF16bLb0ELb1ELb0ELi0ELb0EEELb1ELNS_25InMemoryDataOperationEnumE1ELi2ELNS_10TailNumberE2EEEvNT_8ArgumentE.num_agpr, 0
	.set _ZN2ck27kernel_gemm_xdl_cshuffle_v3INS_28GridwiseGemm_xdl_cshuffle_v3INS_13tensor_layout4gemm8RowMajorENS3_11ColumnMajorES4_DF16bNS_7pk_i4_tEfDF16bDF16bNS_16tensor_operation12element_wise11PassThroughES9_S9_LNS7_6device18GemmSpecializationE0ELi128ELi16ELi64ELi128ELi8ELi32ELi16ELi16ELi1ELi1ENS_8SequenceIJLi16ELi8ELi1EEEENSC_IJLi1ELi0ELi2EEEESE_Li2ELi8ELi8ELb0ELi0ENSC_IJLi4ELi32ELi1EEEESE_SE_Li2ELi32ELi32ELb0ELi0ELi1ELi1ENSC_IJLi1ELi16ELi1ELi8EEEELi4ELNS_26BlockGemmPipelineSchedulerE1ELNS_24BlockGemmPipelineVersionE1EDF16bDF16bLb0ELb1ELb0ELi0ELb0EEELb1ELNS_25InMemoryDataOperationEnumE1ELi2ELNS_10TailNumberE2EEEvNT_8ArgumentE.numbered_sgpr, 29
	.set _ZN2ck27kernel_gemm_xdl_cshuffle_v3INS_28GridwiseGemm_xdl_cshuffle_v3INS_13tensor_layout4gemm8RowMajorENS3_11ColumnMajorES4_DF16bNS_7pk_i4_tEfDF16bDF16bNS_16tensor_operation12element_wise11PassThroughES9_S9_LNS7_6device18GemmSpecializationE0ELi128ELi16ELi64ELi128ELi8ELi32ELi16ELi16ELi1ELi1ENS_8SequenceIJLi16ELi8ELi1EEEENSC_IJLi1ELi0ELi2EEEESE_Li2ELi8ELi8ELb0ELi0ENSC_IJLi4ELi32ELi1EEEESE_SE_Li2ELi32ELi32ELb0ELi0ELi1ELi1ENSC_IJLi1ELi16ELi1ELi8EEEELi4ELNS_26BlockGemmPipelineSchedulerE1ELNS_24BlockGemmPipelineVersionE1EDF16bDF16bLb0ELb1ELb0ELi0ELb0EEELb1ELNS_25InMemoryDataOperationEnumE1ELi2ELNS_10TailNumberE2EEEvNT_8ArgumentE.num_named_barrier, 0
	.set _ZN2ck27kernel_gemm_xdl_cshuffle_v3INS_28GridwiseGemm_xdl_cshuffle_v3INS_13tensor_layout4gemm8RowMajorENS3_11ColumnMajorES4_DF16bNS_7pk_i4_tEfDF16bDF16bNS_16tensor_operation12element_wise11PassThroughES9_S9_LNS7_6device18GemmSpecializationE0ELi128ELi16ELi64ELi128ELi8ELi32ELi16ELi16ELi1ELi1ENS_8SequenceIJLi16ELi8ELi1EEEENSC_IJLi1ELi0ELi2EEEESE_Li2ELi8ELi8ELb0ELi0ENSC_IJLi4ELi32ELi1EEEESE_SE_Li2ELi32ELi32ELb0ELi0ELi1ELi1ENSC_IJLi1ELi16ELi1ELi8EEEELi4ELNS_26BlockGemmPipelineSchedulerE1ELNS_24BlockGemmPipelineVersionE1EDF16bDF16bLb0ELb1ELb0ELi0ELb0EEELb1ELNS_25InMemoryDataOperationEnumE1ELi2ELNS_10TailNumberE2EEEvNT_8ArgumentE.private_seg_size, 0
	.set _ZN2ck27kernel_gemm_xdl_cshuffle_v3INS_28GridwiseGemm_xdl_cshuffle_v3INS_13tensor_layout4gemm8RowMajorENS3_11ColumnMajorES4_DF16bNS_7pk_i4_tEfDF16bDF16bNS_16tensor_operation12element_wise11PassThroughES9_S9_LNS7_6device18GemmSpecializationE0ELi128ELi16ELi64ELi128ELi8ELi32ELi16ELi16ELi1ELi1ENS_8SequenceIJLi16ELi8ELi1EEEENSC_IJLi1ELi0ELi2EEEESE_Li2ELi8ELi8ELb0ELi0ENSC_IJLi4ELi32ELi1EEEESE_SE_Li2ELi32ELi32ELb0ELi0ELi1ELi1ENSC_IJLi1ELi16ELi1ELi8EEEELi4ELNS_26BlockGemmPipelineSchedulerE1ELNS_24BlockGemmPipelineVersionE1EDF16bDF16bLb0ELb1ELb0ELi0ELb0EEELb1ELNS_25InMemoryDataOperationEnumE1ELi2ELNS_10TailNumberE2EEEvNT_8ArgumentE.uses_vcc, 1
	.set _ZN2ck27kernel_gemm_xdl_cshuffle_v3INS_28GridwiseGemm_xdl_cshuffle_v3INS_13tensor_layout4gemm8RowMajorENS3_11ColumnMajorES4_DF16bNS_7pk_i4_tEfDF16bDF16bNS_16tensor_operation12element_wise11PassThroughES9_S9_LNS7_6device18GemmSpecializationE0ELi128ELi16ELi64ELi128ELi8ELi32ELi16ELi16ELi1ELi1ENS_8SequenceIJLi16ELi8ELi1EEEENSC_IJLi1ELi0ELi2EEEESE_Li2ELi8ELi8ELb0ELi0ENSC_IJLi4ELi32ELi1EEEESE_SE_Li2ELi32ELi32ELb0ELi0ELi1ELi1ENSC_IJLi1ELi16ELi1ELi8EEEELi4ELNS_26BlockGemmPipelineSchedulerE1ELNS_24BlockGemmPipelineVersionE1EDF16bDF16bLb0ELb1ELb0ELi0ELb0EEELb1ELNS_25InMemoryDataOperationEnumE1ELi2ELNS_10TailNumberE2EEEvNT_8ArgumentE.uses_flat_scratch, 0
	.set _ZN2ck27kernel_gemm_xdl_cshuffle_v3INS_28GridwiseGemm_xdl_cshuffle_v3INS_13tensor_layout4gemm8RowMajorENS3_11ColumnMajorES4_DF16bNS_7pk_i4_tEfDF16bDF16bNS_16tensor_operation12element_wise11PassThroughES9_S9_LNS7_6device18GemmSpecializationE0ELi128ELi16ELi64ELi128ELi8ELi32ELi16ELi16ELi1ELi1ENS_8SequenceIJLi16ELi8ELi1EEEENSC_IJLi1ELi0ELi2EEEESE_Li2ELi8ELi8ELb0ELi0ENSC_IJLi4ELi32ELi1EEEESE_SE_Li2ELi32ELi32ELb0ELi0ELi1ELi1ENSC_IJLi1ELi16ELi1ELi8EEEELi4ELNS_26BlockGemmPipelineSchedulerE1ELNS_24BlockGemmPipelineVersionE1EDF16bDF16bLb0ELb1ELb0ELi0ELb0EEELb1ELNS_25InMemoryDataOperationEnumE1ELi2ELNS_10TailNumberE2EEEvNT_8ArgumentE.has_dyn_sized_stack, 0
	.set _ZN2ck27kernel_gemm_xdl_cshuffle_v3INS_28GridwiseGemm_xdl_cshuffle_v3INS_13tensor_layout4gemm8RowMajorENS3_11ColumnMajorES4_DF16bNS_7pk_i4_tEfDF16bDF16bNS_16tensor_operation12element_wise11PassThroughES9_S9_LNS7_6device18GemmSpecializationE0ELi128ELi16ELi64ELi128ELi8ELi32ELi16ELi16ELi1ELi1ENS_8SequenceIJLi16ELi8ELi1EEEENSC_IJLi1ELi0ELi2EEEESE_Li2ELi8ELi8ELb0ELi0ENSC_IJLi4ELi32ELi1EEEESE_SE_Li2ELi32ELi32ELb0ELi0ELi1ELi1ENSC_IJLi1ELi16ELi1ELi8EEEELi4ELNS_26BlockGemmPipelineSchedulerE1ELNS_24BlockGemmPipelineVersionE1EDF16bDF16bLb0ELb1ELb0ELi0ELb0EEELb1ELNS_25InMemoryDataOperationEnumE1ELi2ELNS_10TailNumberE2EEEvNT_8ArgumentE.has_recursion, 0
	.set _ZN2ck27kernel_gemm_xdl_cshuffle_v3INS_28GridwiseGemm_xdl_cshuffle_v3INS_13tensor_layout4gemm8RowMajorENS3_11ColumnMajorES4_DF16bNS_7pk_i4_tEfDF16bDF16bNS_16tensor_operation12element_wise11PassThroughES9_S9_LNS7_6device18GemmSpecializationE0ELi128ELi16ELi64ELi128ELi8ELi32ELi16ELi16ELi1ELi1ENS_8SequenceIJLi16ELi8ELi1EEEENSC_IJLi1ELi0ELi2EEEESE_Li2ELi8ELi8ELb0ELi0ENSC_IJLi4ELi32ELi1EEEESE_SE_Li2ELi32ELi32ELb0ELi0ELi1ELi1ENSC_IJLi1ELi16ELi1ELi8EEEELi4ELNS_26BlockGemmPipelineSchedulerE1ELNS_24BlockGemmPipelineVersionE1EDF16bDF16bLb0ELb1ELb0ELi0ELb0EEELb1ELNS_25InMemoryDataOperationEnumE1ELi2ELNS_10TailNumberE2EEEvNT_8ArgumentE.has_indirect_call, 0
	.section	.AMDGPU.csdata,"",@progbits
; Kernel info:
; codeLenInByte = 12700
; TotalNumSgprs: 31
; NumVgprs: 143
; ScratchSize: 0
; MemoryBound: 0
; FloatMode: 240
; IeeeMode: 1
; LDSByteSize: 8192 bytes/workgroup (compile time only)
; SGPRBlocks: 0
; VGPRBlocks: 17
; NumSGPRsForWavesPerEU: 31
; NumVGPRsForWavesPerEU: 143
; Occupancy: 10
; WaveLimiterHint : 0
; COMPUTE_PGM_RSRC2:SCRATCH_EN: 0
; COMPUTE_PGM_RSRC2:USER_SGPR: 2
; COMPUTE_PGM_RSRC2:TRAP_HANDLER: 0
; COMPUTE_PGM_RSRC2:TGID_X_EN: 1
; COMPUTE_PGM_RSRC2:TGID_Y_EN: 0
; COMPUTE_PGM_RSRC2:TGID_Z_EN: 1
; COMPUTE_PGM_RSRC2:TIDIG_COMP_CNT: 0
	.section	.text._ZN2ck27kernel_gemm_xdl_cshuffle_v3INS_28GridwiseGemm_xdl_cshuffle_v3INS_13tensor_layout4gemm8RowMajorENS3_11ColumnMajorES4_DF16bNS_7pk_i4_tEfDF16bDF16bNS_16tensor_operation12element_wise11PassThroughES9_S9_LNS7_6device18GemmSpecializationE0ELi128ELi16ELi64ELi128ELi8ELi32ELi16ELi16ELi1ELi1ENS_8SequenceIJLi16ELi8ELi1EEEENSC_IJLi1ELi0ELi2EEEESE_Li2ELi8ELi8ELb0ELi0ENSC_IJLi4ELi32ELi1EEEESE_SE_Li2ELi32ELi32ELb0ELi0ELi1ELi1ENSC_IJLi1ELi16ELi1ELi8EEEELi4ELNS_26BlockGemmPipelineSchedulerE1ELNS_24BlockGemmPipelineVersionE1EDF16bDF16bLb0ELb1ELb0ELi0ELb0EEELb1ELNS_25InMemoryDataOperationEnumE1ELi2ELNS_10TailNumberE10EEEvNT_8ArgumentE,"axG",@progbits,_ZN2ck27kernel_gemm_xdl_cshuffle_v3INS_28GridwiseGemm_xdl_cshuffle_v3INS_13tensor_layout4gemm8RowMajorENS3_11ColumnMajorES4_DF16bNS_7pk_i4_tEfDF16bDF16bNS_16tensor_operation12element_wise11PassThroughES9_S9_LNS7_6device18GemmSpecializationE0ELi128ELi16ELi64ELi128ELi8ELi32ELi16ELi16ELi1ELi1ENS_8SequenceIJLi16ELi8ELi1EEEENSC_IJLi1ELi0ELi2EEEESE_Li2ELi8ELi8ELb0ELi0ENSC_IJLi4ELi32ELi1EEEESE_SE_Li2ELi32ELi32ELb0ELi0ELi1ELi1ENSC_IJLi1ELi16ELi1ELi8EEEELi4ELNS_26BlockGemmPipelineSchedulerE1ELNS_24BlockGemmPipelineVersionE1EDF16bDF16bLb0ELb1ELb0ELi0ELb0EEELb1ELNS_25InMemoryDataOperationEnumE1ELi2ELNS_10TailNumberE10EEEvNT_8ArgumentE,comdat
	.protected	_ZN2ck27kernel_gemm_xdl_cshuffle_v3INS_28GridwiseGemm_xdl_cshuffle_v3INS_13tensor_layout4gemm8RowMajorENS3_11ColumnMajorES4_DF16bNS_7pk_i4_tEfDF16bDF16bNS_16tensor_operation12element_wise11PassThroughES9_S9_LNS7_6device18GemmSpecializationE0ELi128ELi16ELi64ELi128ELi8ELi32ELi16ELi16ELi1ELi1ENS_8SequenceIJLi16ELi8ELi1EEEENSC_IJLi1ELi0ELi2EEEESE_Li2ELi8ELi8ELb0ELi0ENSC_IJLi4ELi32ELi1EEEESE_SE_Li2ELi32ELi32ELb0ELi0ELi1ELi1ENSC_IJLi1ELi16ELi1ELi8EEEELi4ELNS_26BlockGemmPipelineSchedulerE1ELNS_24BlockGemmPipelineVersionE1EDF16bDF16bLb0ELb1ELb0ELi0ELb0EEELb1ELNS_25InMemoryDataOperationEnumE1ELi2ELNS_10TailNumberE10EEEvNT_8ArgumentE ; -- Begin function _ZN2ck27kernel_gemm_xdl_cshuffle_v3INS_28GridwiseGemm_xdl_cshuffle_v3INS_13tensor_layout4gemm8RowMajorENS3_11ColumnMajorES4_DF16bNS_7pk_i4_tEfDF16bDF16bNS_16tensor_operation12element_wise11PassThroughES9_S9_LNS7_6device18GemmSpecializationE0ELi128ELi16ELi64ELi128ELi8ELi32ELi16ELi16ELi1ELi1ENS_8SequenceIJLi16ELi8ELi1EEEENSC_IJLi1ELi0ELi2EEEESE_Li2ELi8ELi8ELb0ELi0ENSC_IJLi4ELi32ELi1EEEESE_SE_Li2ELi32ELi32ELb0ELi0ELi1ELi1ENSC_IJLi1ELi16ELi1ELi8EEEELi4ELNS_26BlockGemmPipelineSchedulerE1ELNS_24BlockGemmPipelineVersionE1EDF16bDF16bLb0ELb1ELb0ELi0ELb0EEELb1ELNS_25InMemoryDataOperationEnumE1ELi2ELNS_10TailNumberE10EEEvNT_8ArgumentE
	.globl	_ZN2ck27kernel_gemm_xdl_cshuffle_v3INS_28GridwiseGemm_xdl_cshuffle_v3INS_13tensor_layout4gemm8RowMajorENS3_11ColumnMajorES4_DF16bNS_7pk_i4_tEfDF16bDF16bNS_16tensor_operation12element_wise11PassThroughES9_S9_LNS7_6device18GemmSpecializationE0ELi128ELi16ELi64ELi128ELi8ELi32ELi16ELi16ELi1ELi1ENS_8SequenceIJLi16ELi8ELi1EEEENSC_IJLi1ELi0ELi2EEEESE_Li2ELi8ELi8ELb0ELi0ENSC_IJLi4ELi32ELi1EEEESE_SE_Li2ELi32ELi32ELb0ELi0ELi1ELi1ENSC_IJLi1ELi16ELi1ELi8EEEELi4ELNS_26BlockGemmPipelineSchedulerE1ELNS_24BlockGemmPipelineVersionE1EDF16bDF16bLb0ELb1ELb0ELi0ELb0EEELb1ELNS_25InMemoryDataOperationEnumE1ELi2ELNS_10TailNumberE10EEEvNT_8ArgumentE
	.p2align	8
	.type	_ZN2ck27kernel_gemm_xdl_cshuffle_v3INS_28GridwiseGemm_xdl_cshuffle_v3INS_13tensor_layout4gemm8RowMajorENS3_11ColumnMajorES4_DF16bNS_7pk_i4_tEfDF16bDF16bNS_16tensor_operation12element_wise11PassThroughES9_S9_LNS7_6device18GemmSpecializationE0ELi128ELi16ELi64ELi128ELi8ELi32ELi16ELi16ELi1ELi1ENS_8SequenceIJLi16ELi8ELi1EEEENSC_IJLi1ELi0ELi2EEEESE_Li2ELi8ELi8ELb0ELi0ENSC_IJLi4ELi32ELi1EEEESE_SE_Li2ELi32ELi32ELb0ELi0ELi1ELi1ENSC_IJLi1ELi16ELi1ELi8EEEELi4ELNS_26BlockGemmPipelineSchedulerE1ELNS_24BlockGemmPipelineVersionE1EDF16bDF16bLb0ELb1ELb0ELi0ELb0EEELb1ELNS_25InMemoryDataOperationEnumE1ELi2ELNS_10TailNumberE10EEEvNT_8ArgumentE,@function
_ZN2ck27kernel_gemm_xdl_cshuffle_v3INS_28GridwiseGemm_xdl_cshuffle_v3INS_13tensor_layout4gemm8RowMajorENS3_11ColumnMajorES4_DF16bNS_7pk_i4_tEfDF16bDF16bNS_16tensor_operation12element_wise11PassThroughES9_S9_LNS7_6device18GemmSpecializationE0ELi128ELi16ELi64ELi128ELi8ELi32ELi16ELi16ELi1ELi1ENS_8SequenceIJLi16ELi8ELi1EEEENSC_IJLi1ELi0ELi2EEEESE_Li2ELi8ELi8ELb0ELi0ENSC_IJLi4ELi32ELi1EEEESE_SE_Li2ELi32ELi32ELb0ELi0ELi1ELi1ENSC_IJLi1ELi16ELi1ELi8EEEELi4ELNS_26BlockGemmPipelineSchedulerE1ELNS_24BlockGemmPipelineVersionE1EDF16bDF16bLb0ELb1ELb0ELi0ELb0EEELb1ELNS_25InMemoryDataOperationEnumE1ELi2ELNS_10TailNumberE10EEEvNT_8ArgumentE: ; @_ZN2ck27kernel_gemm_xdl_cshuffle_v3INS_28GridwiseGemm_xdl_cshuffle_v3INS_13tensor_layout4gemm8RowMajorENS3_11ColumnMajorES4_DF16bNS_7pk_i4_tEfDF16bDF16bNS_16tensor_operation12element_wise11PassThroughES9_S9_LNS7_6device18GemmSpecializationE0ELi128ELi16ELi64ELi128ELi8ELi32ELi16ELi16ELi1ELi1ENS_8SequenceIJLi16ELi8ELi1EEEENSC_IJLi1ELi0ELi2EEEESE_Li2ELi8ELi8ELb0ELi0ENSC_IJLi4ELi32ELi1EEEESE_SE_Li2ELi32ELi32ELb0ELi0ELi1ELi1ENSC_IJLi1ELi16ELi1ELi8EEEELi4ELNS_26BlockGemmPipelineSchedulerE1ELNS_24BlockGemmPipelineVersionE1EDF16bDF16bLb0ELb1ELb0ELi0ELb0EEELb1ELNS_25InMemoryDataOperationEnumE1ELi2ELNS_10TailNumberE10EEEvNT_8ArgumentE
; %bb.0:
	s_clause 0x4
	s_load_b96 s[12:14], s[0:1], 0x20
	s_load_b96 s[16:18], s[0:1], 0x60
	s_load_b128 s[4:7], s[0:1], 0x10
	s_load_b32 s22, s[0:1], 0x3c
	s_load_b128 s[8:11], s[0:1], 0x50
	s_lshr_b32 s2, ttmp7, 16
	s_mov_b32 s23, ttmp9
	s_wait_kmcnt 0x0
	s_cmp_gt_i32 s14, 1
	s_cselect_b32 s3, -1, 0
	s_bitcmp1_b32 s18, 0
	s_mov_b64 s[18:19], 0
	s_cselect_b32 s15, -1, 0
	s_delay_alu instid0(SALU_CYCLE_1) | instskip(NEXT) | instid1(SALU_CYCLE_1)
	s_and_b32 s3, s3, s15
	s_and_not1_b32 vcc_lo, exec_lo, s3
	s_cbranch_vccnz .LBB6_2
; %bb.1:
	s_mul_i32 s3, s4, s2
	s_delay_alu instid0(SALU_CYCLE_1) | instskip(NEXT) | instid1(SALU_CYCLE_1)
	s_mul_i32 s18, s3, s5
	s_ashr_i32 s19, s18, 31
.LBB6_2:
	s_load_b32 s3, s[0:1], 0x34
	s_add_co_i32 s0, s4, -1
	s_mov_b32 s21, 0
	s_cmp_lt_u32 s0, 16
	s_cbranch_scc1 .LBB6_6
; %bb.3:
	s_add_co_i32 s0, s5, -1
	s_delay_alu instid0(SALU_CYCLE_1)
	s_cmp_lt_u32 s0, 64
	s_mov_b32 s0, 0
	s_cbranch_scc1 .LBB6_10
; %bb.4:
	s_add_co_i32 s0, s4, 15
	s_add_co_i32 s1, s5, 63
	s_ashr_i32 s15, s0, 31
	s_ashr_i32 s20, s1, 31
	s_lshr_b32 s15, s15, 28
	s_lshr_b32 s20, s20, 26
	s_add_co_i32 s0, s0, s15
	s_add_co_i32 s15, s1, s20
	s_ashr_i32 s1, s0, 4
	s_ashr_i32 s0, s15, 6
	;; [unrolled: 1-line block ×3, first 2 shown]
	s_mul_i32 s15, s0, s1
	s_delay_alu instid0(SALU_CYCLE_1) | instskip(NEXT) | instid1(SALU_CYCLE_1)
	s_add_co_i32 s20, s15, 7
	s_ashr_i32 s24, s20, 31
	s_delay_alu instid0(SALU_CYCLE_1) | instskip(NEXT) | instid1(SALU_CYCLE_1)
	s_lshr_b32 s24, s24, 29
	s_add_co_i32 s24, s20, s24
	s_lshr_b32 s20, s25, 29
	s_and_b32 s26, s24, -8
	s_add_co_i32 s25, s23, s20
	s_sub_co_i32 s20, s15, s26
	s_and_b32 s15, s25, -8
	s_add_co_i32 s20, s20, 8
	s_sub_co_i32 s23, s23, s15
	s_ashr_i32 s24, s24, 3
	s_cmp_gt_i32 s23, s20
	s_cbranch_scc1 .LBB6_7
; %bb.5:
	s_mul_i32 s15, s24, s23
	s_ashr_i32 s25, s25, 3
	s_cbranch_execz .LBB6_8
	s_branch .LBB6_9
.LBB6_6:
	s_mov_b32 s15, 0
	s_branch .LBB6_11
.LBB6_7:
                                        ; implicit-def: $sgpr15
	s_ashr_i32 s25, s25, 3
.LBB6_8:
	s_add_co_i32 s15, s24, -1
	s_delay_alu instid0(SALU_CYCLE_1) | instskip(NEXT) | instid1(SALU_CYCLE_1)
	s_mul_i32 s15, s15, s23
	s_add_co_i32 s15, s20, s15
.LBB6_9:
	s_abs_i32 s20, s0
	s_add_co_i32 s15, s15, s25
	s_cvt_f32_u32 s23, s20
	s_sub_co_i32 s24, 0, s20
	s_abs_i32 s25, s15
	s_delay_alu instid0(SALU_CYCLE_1) | instskip(NEXT) | instid1(TRANS32_DEP_1)
	v_rcp_iflag_f32_e32 v1, s23
	v_readfirstlane_b32 s23, v1
	s_mul_f32 s23, s23, 0x4f7ffffe
	s_wait_alu 0xfffe
	s_delay_alu instid0(SALU_CYCLE_2) | instskip(SKIP_1) | instid1(SALU_CYCLE_2)
	s_cvt_u32_f32 s23, s23
	s_wait_alu 0xfffe
	s_mul_i32 s24, s24, s23
	s_delay_alu instid0(SALU_CYCLE_1) | instskip(NEXT) | instid1(SALU_CYCLE_1)
	s_mul_hi_u32 s24, s23, s24
	s_add_co_i32 s23, s23, s24
	s_xor_b32 s24, s15, s0
	s_wait_alu 0xfffe
	s_mul_hi_u32 s23, s25, s23
	s_ashr_i32 s24, s24, 31
	s_wait_alu 0xfffe
	s_mul_i32 s26, s23, s20
	s_delay_alu instid0(SALU_CYCLE_1)
	s_sub_co_i32 s25, s25, s26
	s_add_co_i32 s26, s23, 1
	s_sub_co_i32 s27, s25, s20
	s_cmp_ge_u32 s25, s20
	s_cselect_b32 s23, s26, s23
	s_cselect_b32 s25, s27, s25
	s_wait_alu 0xfffe
	s_add_co_i32 s26, s23, 1
	s_cmp_ge_u32 s25, s20
	s_cselect_b32 s20, s26, s23
	s_lshr_b32 s23, s1, 30
	s_xor_b32 s20, s20, s24
	s_wait_alu 0xfffe
	s_add_co_i32 s23, s1, s23
	s_sub_co_i32 s20, s20, s24
	s_wait_alu 0xfffe
	s_and_b32 s23, s23, -4
	s_mul_i32 s24, s20, s0
	s_wait_alu 0xfffe
	s_sub_co_i32 s1, s1, s23
	s_sub_co_i32 s15, s15, s24
	s_cmp_ge_i32 s20, s23
	s_cselect_b32 s1, s1, 4
	s_ashr_i32 s25, s20, 31
	s_abs_i32 s23, s1
	s_lshr_b32 s25, s25, 30
	s_wait_alu 0xfffe
	s_cvt_f32_u32 s24, s23
	s_add_co_i32 s25, s20, s25
	s_sub_co_i32 s26, 0, s23
	s_and_b32 s25, s25, -4
	v_rcp_iflag_f32_e32 v1, s24
	s_sub_co_i32 s25, s20, s25
	s_wait_alu 0xfffe
	s_mul_i32 s0, s25, s0
	s_delay_alu instid0(SALU_CYCLE_1) | instskip(NEXT) | instid1(TRANS32_DEP_1)
	s_add_co_i32 s15, s0, s15
	v_readfirstlane_b32 s24, v1
	s_mul_f32 s24, s24, 0x4f7ffffe
	s_wait_alu 0xfffe
	s_delay_alu instid0(SALU_CYCLE_2) | instskip(SKIP_1) | instid1(SALU_CYCLE_2)
	s_cvt_u32_f32 s24, s24
	s_wait_alu 0xfffe
	s_mul_i32 s26, s26, s24
	s_delay_alu instid0(SALU_CYCLE_1)
	s_mul_hi_u32 s0, s24, s26
	s_abs_i32 s26, s15
	s_add_co_i32 s24, s24, s0
	s_wait_alu 0xfffe
	s_mul_hi_u32 s0, s26, s24
	s_xor_b32 s24, s15, s1
	s_mul_i32 s27, s0, s23
	s_wait_alu 0xfffe
	s_ashr_i32 s24, s24, 31
	s_sub_co_i32 s26, s26, s27
	s_add_co_i32 s27, s0, 1
	s_sub_co_i32 s28, s26, s23
	s_cmp_ge_u32 s26, s23
	s_cselect_b32 s0, s27, s0
	s_cselect_b32 s26, s28, s26
	s_add_co_i32 s27, s0, 1
	s_cmp_ge_u32 s26, s23
	s_cselect_b32 s0, s27, s0
	s_wait_alu 0xfffe
	s_xor_b32 s0, s0, s24
	s_delay_alu instid0(SALU_CYCLE_1) | instskip(NEXT) | instid1(SALU_CYCLE_1)
	s_sub_co_i32 s0, s0, s24
	s_mul_i32 s1, s0, s1
	s_delay_alu instid0(SALU_CYCLE_1) | instskip(NEXT) | instid1(SALU_CYCLE_1)
	s_sub_co_i32 s1, s15, s1
	s_add_co_i32 s1, s1, s20
	s_delay_alu instid0(SALU_CYCLE_1)
	s_sub_co_i32 s23, s1, s25
.LBB6_10:
	s_wait_alu 0xfffe
	s_mov_b32 s15, s23
	s_mov_b32 s23, s0
.LBB6_11:
	v_lshrrev_b32_e32 v91, 3, v0
	s_wait_kmcnt 0x0
	s_mul_i32 s0, s3, s2
	s_ashr_i32 s26, s12, 31
	s_mul_i32 s20, s0, s5
	s_ashr_i32 s1, s0, 31
	v_dual_mov_b32 v58, 3 :: v_dual_and_b32 v53, 14, v91
	s_lshr_b32 s20, s20, 1
	s_lshl_b64 s[24:25], s[0:1], 1
	s_add_nc_u64 s[0:1], s[10:11], s[20:21]
	s_lshr_b32 s10, s26, 25
	v_lshl_or_b32 v1, s15, 4, v53
	s_add_co_i32 s10, s12, s10
	s_add_co_i32 s11, s4, 0x7fffffff
	s_ashr_i32 s26, s10, 7
	s_add_co_i32 s10, s14, -1
	v_mul_lo_u32 v54, v1, s7
	s_mul_i32 s14, s10, s3
	s_lshl_b32 s12, s5, 7
	s_wait_alu 0xfffe
	s_sub_co_i32 s6, s6, s14
	v_lshrrev_b32_e32 v92, 1, v0
	v_and_b32_e32 v2, 3, v0
	v_and_b32_e32 v105, 15, v0
	s_cmp_lt_u32 s2, s10
	s_mov_b32 s20, s7
	s_wait_alu 0xfffe
	s_cselect_b32 s14, s3, s6
	s_lshl_b32 s6, s23, 6
	v_lshlrev_b32_e32 v3, 5, v2
	s_wait_alu 0xfffe
	v_and_or_b32 v1, v92, 62, s6
	v_lshl_add_u32 v4, v105, 3, v54
	s_mov_b32 s10, s21
	s_add_nc_u64 s[8:9], s[8:9], s[24:25]
	s_mul_u64 s[2:3], s[10:11], s[20:21]
	v_lshl_or_b32 v1, v1, 7, v3
	v_lshlrev_b32_e32 v3, 1, v4
	s_add_co_i32 s14, s14, s3
	v_add_lshl_u32 v9, v4, s7, 1
	s_wait_alu 0xfffe
	s_lshl_b32 s10, s14, 1
	s_mov_b32 s11, 0x31004000
	s_and_b32 s9, s9, 0xffff
	s_clause 0x1
	buffer_load_b128 v[5:8], v3, s[8:11], null offen
	buffer_load_b128 v[41:44], v9, s[8:11], null offen
	v_ashrrev_i32_e32 v3, 1, v1
	v_add_nc_u32_e32 v9, 0x80, v4
	v_add_nc_u32_e32 v1, s12, v1
	s_mul_i32 s2, s5, s26
	s_and_b32 s1, s1, 0xffff
	s_lshl_b32 s2, s2, 6
	s_mov_b32 s3, s11
	s_clause 0x1
	buffer_load_b128 v[45:48], v3, s[0:3], null offen
	buffer_load_b128 v[49:52], v3, s[0:3], null offen offset:64
	v_lshlrev_b32_e32 v3, 1, v9
	v_add_nc_u32_e32 v55, s12, v1
	v_add_lshl_u32 v9, v9, s7, 1
	v_add_nc_u32_e32 v10, 0x80, v1
	v_add_nc_u32_e32 v4, 0x100, v4
	s_clause 0x1
	buffer_load_b128 v[37:40], v3, s[8:11], null offen
	buffer_load_b128 v[33:36], v9, s[8:11], null offen
	v_ashrrev_i32_e32 v1, 1, v1
	v_add_nc_u32_e32 v3, 0x80, v55
	v_ashrrev_i32_e32 v9, 1, v10
	v_lshlrev_b32_e32 v10, 1, v4
	v_add_lshl_u32 v4, v4, s7, 1
	v_ashrrev_i32_e32 v17, 1, v55
	v_ashrrev_i32_e32 v3, 1, v3
	s_clause 0x1
	buffer_load_b128 v[29:32], v1, s[0:3], null offen
	buffer_load_b128 v[25:28], v9, s[0:3], null offen
	s_clause 0x1
	buffer_load_b128 v[9:12], v10, s[8:11], null offen
	buffer_load_b128 v[13:16], v4, s[8:11], null offen
	;; [unrolled: 3-line block ×3, first 2 shown]
	v_lshlrev_b32_e32 v4, 2, v0
	v_bfe_u32 v56, v0, 2, 3
	v_mov_b32_e32 v1, 0
	v_lshlrev_b32_e32 v57, 1, v2
	v_lshrrev_b32_e32 v3, 2, v0
	v_and_b32_e32 v60, 64, v4
	v_or_b32_e32 v106, 12, v2
	v_or_b32_e32 v107, 1, v91
	v_xor_b32_e32 v64, v57, v56
	v_or_b32_e32 v57, 1, v57
	v_lshrrev_b32_e32 v65, 3, v60
	v_lshrrev_b32_e32 v66, 5, v60
	;; [unrolled: 1-line block ×3, first 2 shown]
	v_or_b32_e32 v60, 32, v60
	v_mov_b32_e32 v2, v1
	v_and_or_b32 v61, v92, 48, v105
	v_xor_b32_e32 v56, v57, v56
	v_and_or_b32 v68, v0, 1, v68
	v_lshrrev_b32_e32 v72, 3, v60
	v_lshrrev_b32_e32 v60, 5, v60
	v_lshlrev_b32_e32 v59, 8, v3
	v_xor_b32_e32 v110, v53, v105
	v_lshlrev_b32_e32 v63, 7, v53
	v_lshrrev_b32_e32 v67, 1, v61
	v_sub_nc_u32_e32 v60, v60, v66
	v_bfe_u32 v61, v61, 1, 3
	v_or_b32_e32 v69, 1, v53
	v_sub_nc_u32_e32 v53, v107, v53
	v_sub_nc_u32_e32 v66, v56, v64
	;; [unrolled: 1-line block ×3, first 2 shown]
	v_lshl_add_u32 v60, v60, 1, v68
	v_lshlrev_b32_e32 v62, 8, v105
	v_lshl_or_b32 v109, v64, 5, v59
	v_xor_b32_e32 v59, v65, v105
	v_lshlrev_b32_e32 v67, 8, v67
	v_xor_b32_e32 v69, v69, v105
	v_or_b32_e32 v57, 1, v65
	v_or_b32_e32 v70, 2, v65
	;; [unrolled: 1-line block ×6, first 2 shown]
	v_lshlrev_b32_e32 v111, 7, v53
	v_add_nc_u32_e32 v112, -1, v53
	v_xor_b32_e32 v53, v61, v68
	v_lshlrev_b32_e32 v115, 5, v56
	v_xor_b32_e32 v56, v60, v61
	v_lshl_or_b32 v63, v110, 3, v63
	v_sub_nc_u32_e32 v76, v69, v110
	v_sub_nc_u32_e32 v69, v110, v69
	v_lshl_or_b32 v94, v59, 4, v62
	v_xor_b32_e32 v57, v57, v105
	v_xor_b32_e32 v62, v70, v105
	v_xor_b32_e32 v70, v71, v105
	v_xor_b32_e32 v71, v72, v105
	v_xor_b32_e32 v72, v73, v105
	v_xor_b32_e32 v73, v74, v105
	v_xor_b32_e32 v65, v65, v105
	v_add_nc_u32_e32 v64, s7, v54
	v_lshlrev_b32_e32 v113, 1, v54
	v_lshl_or_b32 v54, v53, 5, v67
	v_lshlrev_b32_e32 v114, 5, v66
	v_sub_nc_u32_e32 v53, v56, v53
	v_lshlrev_b32_e32 v75, 1, v63
	s_ashr_i32 s14, s22, 31
	v_lshlrev_b32_e32 v67, 3, v76
	v_lshlrev_b32_e32 v68, 3, v69
	v_sub_nc_u32_e32 v57, v57, v59
	v_sub_nc_u32_e32 v62, v62, v59
	;; [unrolled: 1-line block ×7, first 2 shown]
	v_add_nc_u32_e32 v60, v114, v109
	v_lshl_add_u32 v53, v53, 5, v54
	v_lshl_add_u32 v69, v76, 4, v75
	s_wait_alu 0xfffe
	s_lshr_b32 s14, s14, 28
	v_lshrrev_b32_e32 v77, 1, v109
	s_wait_alu 0xfffe
	s_add_co_i32 s22, s22, s14
	v_dual_mov_b32 v3, v1 :: v_dual_lshlrev_b32 v108, 4, v105
	v_mov_b32_e32 v4, v1
	v_lshl_add_u32 v116, v64, 1, 0x500
	v_add3_u32 v61, v67, v63, v68
	v_lshl_add_u32 v95, v57, 4, v94
	v_lshl_add_u32 v96, v62, 4, v94
	;; [unrolled: 1-line block ×7, first 2 shown]
	v_lshrrev_b32_e32 v102, 1, v54
	v_add_nc_u32_e32 v57, s12, v55
	v_ashrrev_i32_e32 v54, 1, v60
	v_ashrrev_i32_e32 v93, 1, v53
	s_wait_alu 0xfffe
	s_ashr_i32 s14, s22, 4
	s_wait_loadcnt 0xb
	ds_store_b128 v75, v[5:8]
	s_wait_loadcnt 0xa
	ds_store_b128 v69, v[41:44] offset:256
	s_wait_loadcnt 0x9
	ds_store_b128 v77, v[45:48] offset:4096
	v_dual_mov_b32 v5, v1 :: v_dual_mov_b32 v6, v1
	v_dual_mov_b32 v7, v1 :: v_dual_mov_b32 v8, v1
	s_wait_alu 0xfffe
	s_add_co_i32 s7, s14, -3
	s_wait_loadcnt 0x8
	ds_store_b128 v54, v[49:52] offset:4096
.LBB6_12:                               ; =>This Inner Loop Header: Depth=1
	s_wait_dscnt 0x0
	s_barrier_signal -1
	s_barrier_wait -1
	ds_load_b128 v[49:52], v102 offset:4096
	ds_load_b128 v[53:56], v94
	ds_load_b128 v[62:65], v95
	;; [unrolled: 1-line block ×8, first 2 shown]
	ds_load_b128 v[82:85], v93 offset:4096
	s_wait_dscnt 0x9
	v_lshrrev_b32_e32 v60, 4, v49
	v_and_or_b32 v59, v49, 15, 0x4b000000
	v_lshrrev_b32_e32 v86, 8, v49
	v_lshrrev_b32_e32 v87, 12, v49
	v_ashrrev_i32_e32 v49, 16, v49
	v_and_or_b32 v60, v60, 15, 0x4b000000
	v_add_f32_e32 v59, 0xcb000008, v59
	v_and_or_b32 v86, v86, 15, 0x4b000000
	v_and_or_b32 v87, v87, 15, 0x4b000000
	v_lshrrev_b32_e32 v88, 4, v49
	v_and_or_b32 v104, v49, 15, 0x4b000000
	v_lshrrev_b32_e32 v117, 8, v49
	v_lshrrev_b32_e32 v49, 12, v49
	v_add_f32_e32 v60, 0xcb000008, v60
	v_lshrrev_b32_e32 v89, 4, v50
	v_lshrrev_b32_e32 v90, 8, v50
	;; [unrolled: 1-line block ×3, first 2 shown]
	v_and_or_b32 v49, v49, 15, 0x4b000000
	v_add_f32_e32 v118, 0xcb000008, v86
	v_add_f32_e32 v86, 0xcb000008, v87
	v_lshrrev_b32_e32 v60, 16, v60
	v_and_or_b32 v87, v117, 15, 0x4b000000
	v_and_or_b32 v88, v88, 15, 0x4b000000
	v_add_f32_e32 v49, 0xcb000008, v49
	v_lshrrev_b32_e32 v117, 16, v86
	v_and_or_b32 v86, 0xffff0000, v59, v60
	v_and_or_b32 v59, v50, 15, 0x4b000000
	v_ashrrev_i32_e32 v50, 16, v50
	v_and_or_b32 v60, v89, 15, 0x4b000000
	v_and_or_b32 v89, v90, 15, 0x4b000000
	;; [unrolled: 1-line block ×3, first 2 shown]
	v_dual_add_f32 v88, 0xcb000008, v88 :: v_dual_add_f32 v119, 0xcb000008, v87
	v_lshrrev_b32_e32 v103, 4, v50
	v_dual_add_f32 v104, 0xcb000008, v104 :: v_dual_add_f32 v59, 0xcb000008, v59
	s_delay_alu instid0(VALU_DEP_3) | instskip(SKIP_1) | instid1(VALU_DEP_4)
	v_lshrrev_b32_e32 v88, 16, v88
	v_and_or_b32 v87, 0xffff0000, v118, v117
	v_and_or_b32 v103, v103, 15, 0x4b000000
	v_add_f32_e32 v60, 0xcb000008, v60
	v_lshrrev_b32_e32 v49, 16, v49
	v_and_or_b32 v88, 0xffff0000, v104, v88
	v_lshrrev_b32_e32 v104, 12, v50
	v_add_f32_e32 v103, 0xcb000008, v103
	v_lshrrev_b32_e32 v60, 16, v60
	s_delay_alu instid0(VALU_DEP_3) | instskip(NEXT) | instid1(VALU_DEP_3)
	v_and_or_b32 v104, v104, 15, 0x4b000000
	v_lshrrev_b32_e32 v103, 16, v103
	s_delay_alu instid0(VALU_DEP_3) | instskip(SKIP_2) | instid1(VALU_DEP_2)
	v_and_or_b32 v117, 0xffff0000, v59, v60
	v_lshrrev_b32_e32 v59, 12, v51
	v_and_or_b32 v60, v51, 15, 0x4b000000
	v_and_or_b32 v59, v59, 15, 0x4b000000
	v_dual_add_f32 v118, 0xcb000008, v89 :: v_dual_add_f32 v89, 0xcb000008, v90
	v_lshrrev_b32_e32 v90, 8, v50
	v_and_or_b32 v50, v50, 15, 0x4b000000
	s_delay_alu instid0(VALU_DEP_4) | instskip(NEXT) | instid1(VALU_DEP_4)
	v_dual_add_f32 v59, 0xcb000008, v59 :: v_dual_add_f32 v60, 0xcb000008, v60
	v_lshrrev_b32_e32 v120, 16, v89
	v_and_or_b32 v89, 0xffff0000, v119, v49
	v_lshrrev_b32_e32 v49, 4, v51
	v_and_or_b32 v90, v90, 15, 0x4b000000
	v_add_f32_e32 v50, 0xcb000008, v50
	v_and_or_b32 v118, 0xffff0000, v118, v120
	v_lshrrev_b32_e32 v59, 16, v59
	v_and_or_b32 v49, v49, 15, 0x4b000000
	v_add_f32_e32 v104, 0xcb000008, v104
	v_add_f32_e32 v90, 0xcb000008, v90
	v_and_or_b32 v119, 0xffff0000, v50, v103
	v_lshrrev_b32_e32 v50, 8, v51
	v_ashrrev_i32_e32 v51, 16, v51
	v_add_f32_e32 v49, 0xcb000008, v49
	v_lshrrev_b32_e32 v104, 16, v104
	s_delay_alu instid0(VALU_DEP_4) | instskip(NEXT) | instid1(VALU_DEP_4)
	v_and_or_b32 v50, v50, 15, 0x4b000000
	v_lshrrev_b32_e32 v103, 12, v51
	s_delay_alu instid0(VALU_DEP_4) | instskip(NEXT) | instid1(VALU_DEP_4)
	v_lshrrev_b32_e32 v49, 16, v49
	v_and_or_b32 v120, 0xffff0000, v90, v104
	v_lshrrev_b32_e32 v90, 4, v51
	v_lshrrev_b32_e32 v104, 8, v51
	v_and_or_b32 v51, v51, 15, 0x4b000000
	v_and_or_b32 v103, v103, 15, 0x4b000000
	;; [unrolled: 1-line block ×5, first 2 shown]
	v_add_f32_e32 v51, 0xcb000008, v51
	v_add_f32_e32 v103, 0xcb000008, v103
	v_lshrrev_b32_e32 v49, 4, v52
	v_add_f32_e32 v90, 0xcb000008, v90
	v_add_f32_e32 v104, 0xcb000008, v104
	s_delay_alu instid0(VALU_DEP_4) | instskip(NEXT) | instid1(VALU_DEP_4)
	v_lshrrev_b32_e32 v103, 16, v103
	v_and_or_b32 v49, v49, 15, 0x4b000000
	s_delay_alu instid0(VALU_DEP_4) | instskip(NEXT) | instid1(VALU_DEP_3)
	v_lshrrev_b32_e32 v90, 16, v90
	v_and_or_b32 v124, 0xffff0000, v104, v103
	s_delay_alu instid0(VALU_DEP_3) | instskip(NEXT) | instid1(VALU_DEP_3)
	v_add_f32_e32 v49, 0xcb000008, v49
	v_and_or_b32 v123, 0xffff0000, v51, v90
	v_lshrrev_b32_e32 v51, 12, v52
	s_wait_dscnt 0x0
	v_and_or_b32 v104, v82, 15, 0x4b000000
	v_lshrrev_b32_e32 v49, 16, v49
	s_delay_alu instid0(VALU_DEP_3) | instskip(SKIP_1) | instid1(VALU_DEP_2)
	v_and_or_b32 v51, v51, 15, 0x4b000000
	v_add_f32_e32 v50, 0xcb000008, v50
	v_dual_add_f32 v104, 0xcb000008, v104 :: v_dual_add_f32 v51, 0xcb000008, v51
	s_delay_alu instid0(VALU_DEP_2) | instskip(SKIP_4) | instid1(VALU_DEP_4)
	v_and_or_b32 v122, 0xffff0000, v50, v59
	v_ashrrev_i32_e32 v59, 16, v52
	v_lshrrev_b32_e32 v50, 8, v52
	v_and_or_b32 v52, v52, 15, 0x4b000000
	v_lshrrev_b32_e32 v51, 16, v51
	v_lshrrev_b32_e32 v60, 4, v59
	s_delay_alu instid0(VALU_DEP_4)
	v_and_or_b32 v50, v50, 15, 0x4b000000
	v_lshrrev_b32_e32 v90, 12, v59
	v_lshrrev_b32_e32 v103, 8, v59
	v_and_or_b32 v59, v59, 15, 0x4b000000
	v_and_or_b32 v60, v60, 15, 0x4b000000
	v_add_f32_e32 v52, 0xcb000008, v52
	v_add_f32_e32 v50, 0xcb000008, v50
	v_and_or_b32 v90, v90, 15, 0x4b000000
	v_and_or_b32 v103, v103, 15, 0x4b000000
	v_dual_add_f32 v60, 0xcb000008, v60 :: v_dual_add_f32 v59, 0xcb000008, v59
	v_and_or_b32 v49, 0xffff0000, v52, v49
	s_delay_alu instid0(VALU_DEP_4) | instskip(SKIP_1) | instid1(VALU_DEP_4)
	v_add_f32_e32 v52, 0xcb000008, v90
	v_and_or_b32 v50, 0xffff0000, v50, v51
	v_lshrrev_b32_e32 v60, 16, v60
	v_add_f32_e32 v90, 0xcb000008, v103
	v_lshrrev_b32_e32 v103, 12, v82
	v_lshrrev_b32_e32 v52, 16, v52
	s_delay_alu instid0(VALU_DEP_4)
	v_and_or_b32 v51, 0xffff0000, v59, v60
	v_lshrrev_b32_e32 v59, 4, v82
	v_lshrrev_b32_e32 v60, 8, v82
	v_ashrrev_i32_e32 v82, 16, v82
	v_and_or_b32 v103, v103, 15, 0x4b000000
	v_and_or_b32 v52, 0xffff0000, v90, v52
	;; [unrolled: 1-line block ×4, first 2 shown]
	v_lshrrev_b32_e32 v125, 4, v82
	v_lshrrev_b32_e32 v126, 12, v82
	;; [unrolled: 1-line block ×3, first 2 shown]
	v_add_f32_e32 v59, 0xcb000008, v59
	v_add_f32_e32 v103, 0xcb000008, v103
	v_and_or_b32 v125, v125, 15, 0x4b000000
	v_and_or_b32 v126, v126, 15, 0x4b000000
	v_and_or_b32 v82, v82, 15, 0x4b000000
	v_and_or_b32 v127, v127, 15, 0x4b000000
	s_delay_alu instid0(VALU_DEP_4)
	v_dual_add_f32 v60, 0xcb000008, v60 :: v_dual_add_f32 v125, 0xcb000008, v125
	v_lshrrev_b32_e32 v59, 16, v59
	v_add_f32_e32 v126, 0xcb000008, v126
	v_lshrrev_b32_e32 v103, 16, v103
	v_add_f32_e32 v82, 0xcb000008, v82
	v_add_f32_e32 v128, 0xcb000008, v127
	v_lshrrev_b32_e32 v127, 16, v125
	v_lshrrev_b32_e32 v129, 16, v126
	v_and_or_b32 v125, 0xffff0000, v104, v59
	v_and_or_b32 v126, 0xffff0000, v60, v103
	v_lshrrev_b32_e32 v59, 4, v83
	v_and_or_b32 v127, 0xffff0000, v82, v127
	v_lshrrev_b32_e32 v60, 8, v83
	v_lshrrev_b32_e32 v82, 12, v83
	v_and_or_b32 v90, v83, 15, 0x4b000000
	v_ashrrev_i32_e32 v83, 16, v83
	v_and_or_b32 v128, 0xffff0000, v128, v129
	v_and_or_b32 v59, v59, 15, 0x4b000000
	;; [unrolled: 1-line block ×4, first 2 shown]
	v_lshrrev_b32_e32 v103, 4, v83
	v_lshrrev_b32_e32 v104, 12, v83
	;; [unrolled: 1-line block ×3, first 2 shown]
	v_and_or_b32 v83, v83, 15, 0x4b000000
	v_add_f32_e32 v59, 0xcb000008, v59
	v_and_or_b32 v103, v103, 15, 0x4b000000
	v_add_f32_e32 v82, 0xcb000008, v82
	s_delay_alu instid0(VALU_DEP_4) | instskip(NEXT) | instid1(VALU_DEP_3)
	v_dual_add_f32 v90, 0xcb000008, v90 :: v_dual_add_f32 v83, 0xcb000008, v83
	v_dual_add_f32 v60, 0xcb000008, v60 :: v_dual_add_f32 v103, 0xcb000008, v103
	v_and_or_b32 v104, v104, 15, 0x4b000000
	v_lshrrev_b32_e32 v59, 16, v59
	v_and_or_b32 v129, v129, 15, 0x4b000000
	v_lshrrev_b32_e32 v82, 16, v82
	v_lshrrev_b32_e32 v103, 16, v103
	v_add_f32_e32 v104, 0xcb000008, v104
	s_delay_alu instid0(VALU_DEP_4) | instskip(SKIP_1) | instid1(VALU_DEP_4)
	v_add_f32_e32 v132, 0xcb000008, v129
	v_and_or_b32 v129, 0xffff0000, v90, v59
	v_and_or_b32 v131, 0xffff0000, v83, v103
	v_ashrrev_i32_e32 v83, 16, v84
	v_and_or_b32 v130, 0xffff0000, v60, v82
	v_lshrrev_b32_e32 v59, 4, v84
	v_lshrrev_b32_e32 v82, 12, v84
	;; [unrolled: 1-line block ×5, first 2 shown]
	v_and_or_b32 v59, v59, 15, 0x4b000000
	v_and_or_b32 v82, v82, 15, 0x4b000000
	;; [unrolled: 1-line block ×6, first 2 shown]
	v_dual_add_f32 v59, 0xcb000008, v59 :: v_dual_add_f32 v82, 0xcb000008, v82
	v_lshrrev_b32_e32 v103, 12, v83
	v_lshrrev_b32_e32 v104, 8, v83
	v_and_or_b32 v83, v83, 15, 0x4b000000
	v_add_f32_e32 v90, 0xcb000008, v90
	v_add_f32_e32 v84, 0xcb000008, v84
	;; [unrolled: 1-line block ×3, first 2 shown]
	v_lshrrev_b32_e32 v59, 16, v59
	v_lshrrev_b32_e32 v133, 16, v82
	v_and_or_b32 v103, v103, 15, 0x4b000000
	v_and_or_b32 v104, v104, 15, 0x4b000000
	v_add_f32_e32 v134, 0xcb000008, v83
	v_lshrrev_b32_e32 v90, 16, v90
	v_and_or_b32 v82, 0xffff0000, v84, v59
	v_add_f32_e32 v59, 0xcb000008, v103
	v_and_or_b32 v83, 0xffff0000, v60, v133
	v_add_f32_e32 v60, 0xcb000008, v104
	v_and_or_b32 v84, 0xffff0000, v134, v90
	v_lshrrev_b32_e32 v90, 4, v85
	v_lshrrev_b32_e32 v103, 8, v85
	;; [unrolled: 1-line block ×3, first 2 shown]
	v_and_or_b32 v133, v85, 15, 0x4b000000
	v_ashrrev_i32_e32 v85, 16, v85
	v_and_or_b32 v90, v90, 15, 0x4b000000
	v_and_or_b32 v103, v103, 15, 0x4b000000
	v_and_or_b32 v104, v104, 15, 0x4b000000
	v_lshrrev_b32_e32 v59, 16, v59
	v_lshrrev_b32_e32 v134, 4, v85
	;; [unrolled: 1-line block ×4, first 2 shown]
	v_add_f32_e32 v90, 0xcb000008, v90
	v_add_f32_e32 v104, 0xcb000008, v104
	v_and_or_b32 v134, v134, 15, 0x4b000000
	v_and_or_b32 v135, v135, 15, 0x4b000000
	;; [unrolled: 1-line block ×4, first 2 shown]
	s_delay_alu instid0(VALU_DEP_4) | instskip(NEXT) | instid1(VALU_DEP_4)
	v_dual_add_f32 v133, 0xcb000008, v133 :: v_dual_add_f32 v134, 0xcb000008, v134
	v_add_f32_e32 v135, 0xcb000008, v135
	v_add_f32_e32 v103, 0xcb000008, v103
	v_lshrrev_b32_e32 v90, 16, v90
	v_lshrrev_b32_e32 v104, 16, v104
	v_dual_add_f32 v137, 0xcb000008, v85 :: v_dual_add_f32 v136, 0xcb000008, v136
	v_lshrrev_b32_e32 v138, 16, v134
	v_lshrrev_b32_e32 v139, 16, v135
	v_and_or_b32 v85, 0xffff0000, v60, v59
	v_and_or_b32 v133, 0xffff0000, v133, v90
	;; [unrolled: 1-line block ×5, first 2 shown]
	; sched_barrier mask(0x00000000)
	s_barrier_signal -1
	s_barrier_wait -1
	; sched_barrier mask(0x00000000)
	v_wmma_f32_16x16x16_bf16 v[1:8], v[86:89], v[53:56], v[1:8]
	s_delay_alu instid0(VALU_DEP_1) | instskip(NEXT) | instid1(VALU_DEP_1)
	v_wmma_f32_16x16x16_bf16 v[1:8], v[117:120], v[62:65], v[1:8]
	v_wmma_f32_16x16x16_bf16 v[1:8], v[121:124], v[66:69], v[1:8]
	s_delay_alu instid0(VALU_DEP_1)
	v_wmma_f32_16x16x16_bf16 v[1:8], v[49:52], v[70:73], v[1:8]
	; sched_barrier mask(0x00000000)
	s_setprio 1
	; sched_barrier mask(0x00000000)
	; sched_barrier mask(0x00000000)
	s_wait_dscnt 0x0
	s_barrier_signal -1
	s_barrier_wait -1
	; sched_barrier mask(0x00000000)
	v_wmma_f32_16x16x16_bf16 v[1:8], v[125:128], v[74:77], v[1:8]
	s_delay_alu instid0(VALU_DEP_1) | instskip(NEXT) | instid1(VALU_DEP_1)
	v_wmma_f32_16x16x16_bf16 v[1:8], v[129:132], v[78:81], v[1:8]
	v_wmma_f32_16x16x16_bf16 v[1:8], v[82:85], v[45:48], v[1:8]
	s_delay_alu instid0(VALU_DEP_1)
	v_wmma_f32_16x16x16_bf16 v[1:8], v[133:136], v[41:44], v[1:8]
	; sched_barrier mask(0x00000000)
	s_setprio 0
	; sched_barrier mask(0x00000000)
	v_lshlrev_b32_e32 v41, 1, v61
	v_add_nc_u32_e32 v119, v108, v116
	v_add_nc_u32_e32 v118, v108, v113
	v_add_nc_u32_e64 v123, 4, s21
	s_wait_loadcnt 0x7
	ds_store_b128 v41, v[37:40]
	v_ashrrev_i32_e32 v37, 31, v107
	buffer_load_b128 v[41:44], v118, s[8:11], null offen offset:768
	v_lshrrev_b32_e32 v37, 28, v37
	s_delay_alu instid0(VALU_DEP_1) | instskip(NEXT) | instid1(VALU_DEP_1)
	v_add_nc_u32_e32 v37, v107, v37
	v_and_b32_e32 v37, -16, v37
	s_delay_alu instid0(VALU_DEP_1) | instskip(NEXT) | instid1(VALU_DEP_1)
	v_sub_nc_u32_e32 v37, v107, v37
	v_xor_b32_e32 v122, v37, v105
	s_delay_alu instid0(VALU_DEP_1) | instskip(NEXT) | instid1(VALU_DEP_1)
	v_sub_nc_u32_e32 v37, v122, v110
	v_lshlrev_b32_e32 v37, 3, v37
	s_delay_alu instid0(VALU_DEP_1) | instskip(NEXT) | instid1(VALU_DEP_1)
	v_add3_u32 v37, v61, v111, v37
	v_lshlrev_b32_e32 v121, 1, v37
	s_wait_loadcnt 0x7
	ds_store_b128 v121, v[33:36]
	v_add_nc_u32_e32 v33, -1, v107
	s_delay_alu instid0(VALU_DEP_1) | instskip(NEXT) | instid1(VALU_DEP_1)
	v_ashrrev_i32_e32 v34, 31, v33
	v_lshrrev_b32_e32 v34, 28, v34
	s_delay_alu instid0(VALU_DEP_1) | instskip(NEXT) | instid1(VALU_DEP_1)
	v_add_nc_u32_e32 v34, v33, v34
	v_and_b32_e32 v34, -16, v34
	s_delay_alu instid0(VALU_DEP_1) | instskip(NEXT) | instid1(VALU_DEP_1)
	v_sub_nc_u32_e32 v33, v33, v34
	v_xor_b32_e32 v110, v33, v105
	s_delay_alu instid0(VALU_DEP_1) | instskip(NEXT) | instid1(VALU_DEP_1)
	v_sub_nc_u32_e32 v33, v110, v122
	v_lshlrev_b32_e32 v103, 3, v33
	v_lshrrev_b32_e32 v33, 31, v109
	s_delay_alu instid0(VALU_DEP_2) | instskip(NEXT) | instid1(VALU_DEP_2)
	v_add_nc_u32_e32 v117, 0xffffff80, v103
	v_add_nc_u32_e32 v33, v109, v33
	s_delay_alu instid0(VALU_DEP_2) | instskip(NEXT) | instid1(VALU_DEP_2)
	v_add_nc_u32_e32 v120, v117, v37
	v_ashrrev_i32_e32 v33, 1, v33
	s_wait_loadcnt 0x6
	ds_store_b128 v33, v[29:32] offset:4096
	v_add_nc_u32_e32 v29, v109, v114
	s_delay_alu instid0(VALU_DEP_1) | instskip(SKIP_1) | instid1(VALU_DEP_2)
	v_lshrrev_b32_e32 v30, 31, v29
	v_add_nc_u32_e32 v109, v29, v115
	v_add_nc_u32_e32 v30, v29, v30
	s_delay_alu instid0(VALU_DEP_1)
	v_ashrrev_i32_e32 v104, 1, v30
	s_wait_loadcnt 0x5
	ds_store_b128 v104, v[25:28] offset:4096
	v_add_nc_u32_e32 v25, 0xfffffe00, v119
	buffer_load_b128 v[45:48], v25, s[8:11], null offen
	v_lshrrev_b32_e32 v25, 31, v57
	s_delay_alu instid0(VALU_DEP_1) | instskip(NEXT) | instid1(VALU_DEP_1)
	v_add_nc_u32_e32 v25, v57, v25
	v_ashrrev_i32_e32 v25, 1, v25
	buffer_load_b128 v[49:52], v25, s[0:3], null offen
	v_add_nc_u32_e32 v25, 0x80, v57
	s_delay_alu instid0(VALU_DEP_1) | instskip(NEXT) | instid1(VALU_DEP_1)
	v_lshrrev_b32_e32 v26, 31, v25
	v_add_nc_u32_e32 v25, v25, v26
	s_delay_alu instid0(VALU_DEP_1)
	v_ashrrev_i32_e32 v25, 1, v25
	buffer_load_b128 v[53:56], v25, s[0:3], null offen
	v_sub_nc_u32_e32 v25, v123, v58
	s_wait_dscnt 0x0
	s_barrier_signal -1
	s_barrier_wait -1
	s_delay_alu instid0(VALU_DEP_1)
	v_mad_co_u64_u32 v[89:90], null, v25, s12, v[57:58]
	ds_load_b128 v[69:72], v94
	ds_load_b128 v[65:68], v95
	;; [unrolled: 1-line block ×8, first 2 shown]
	ds_load_b128 v[84:87], v102 offset:4096
	s_wait_dscnt 0x0
	v_lshrrev_b32_e32 v74, 4, v84
	v_lshrrev_b32_e32 v76, 12, v84
	v_and_or_b32 v73, v84, 15, 0x4b000000
	v_lshrrev_b32_e32 v75, 8, v84
	v_lshrrev_b32_e32 v80, 12, v85
	v_and_or_b32 v74, v74, 15, 0x4b000000
	v_and_or_b32 v76, v76, 15, 0x4b000000
	v_add_f32_e32 v73, 0xcb000008, v73
	v_and_or_b32 v75, v75, 15, 0x4b000000
	v_and_or_b32 v80, v80, 15, 0x4b000000
	v_add_f32_e32 v74, 0xcb000008, v74
	v_add_f32_e32 v76, 0xcb000008, v76
	v_lshrrev_b32_e32 v90, 12, v87
	s_delay_alu instid0(VALU_DEP_4) | instskip(NEXT) | instid1(VALU_DEP_4)
	v_dual_add_f32 v75, 0xcb000008, v75 :: v_dual_add_f32 v80, 0xcb000008, v80
	v_lshrrev_b32_e32 v74, 16, v74
	s_delay_alu instid0(VALU_DEP_3) | instskip(NEXT) | instid1(VALU_DEP_2)
	v_and_or_b32 v90, v90, 15, 0x4b000000
	v_and_or_b32 v73, 0xffff0000, v73, v74
	v_lshrrev_b32_e32 v74, 16, v76
	s_delay_alu instid0(VALU_DEP_3) | instskip(NEXT) | instid1(VALU_DEP_2)
	v_add_f32_e32 v90, 0xcb000008, v90
	v_and_or_b32 v74, 0xffff0000, v75, v74
	v_ashrrev_i32_e32 v75, 16, v84
	v_lshrrev_b32_e32 v84, 12, v86
	s_delay_alu instid0(VALU_DEP_2)
	v_lshrrev_b32_e32 v77, 4, v75
	v_and_or_b32 v76, v75, 15, 0x4b000000
	v_lshrrev_b32_e32 v78, 8, v75
	v_lshrrev_b32_e32 v75, 12, v75
	v_and_or_b32 v84, v84, 15, 0x4b000000
	v_and_or_b32 v77, v77, 15, 0x4b000000
	v_add_f32_e32 v76, 0xcb000008, v76
	v_and_or_b32 v78, v78, 15, 0x4b000000
	v_and_or_b32 v75, v75, 15, 0x4b000000
	s_delay_alu instid0(VALU_DEP_4) | instskip(NEXT) | instid1(VALU_DEP_2)
	v_dual_add_f32 v84, 0xcb000008, v84 :: v_dual_add_f32 v77, 0xcb000008, v77
	v_dual_add_f32 v78, 0xcb000008, v78 :: v_dual_add_f32 v79, 0xcb000008, v75
	s_delay_alu instid0(VALU_DEP_2) | instskip(SKIP_1) | instid1(VALU_DEP_2)
	v_lshrrev_b32_e32 v75, 16, v77
	v_and_or_b32 v77, v85, 15, 0x4b000000
	v_and_or_b32 v75, 0xffff0000, v76, v75
	s_delay_alu instid0(VALU_DEP_4) | instskip(SKIP_1) | instid1(VALU_DEP_4)
	v_lshrrev_b32_e32 v76, 16, v79
	v_lshrrev_b32_e32 v79, 8, v85
	v_add_f32_e32 v77, 0xcb000008, v77
	s_delay_alu instid0(VALU_DEP_3) | instskip(SKIP_1) | instid1(VALU_DEP_4)
	v_and_or_b32 v76, 0xffff0000, v78, v76
	v_lshrrev_b32_e32 v78, 4, v85
	v_and_or_b32 v79, v79, 15, 0x4b000000
	s_delay_alu instid0(VALU_DEP_2) | instskip(NEXT) | instid1(VALU_DEP_1)
	v_and_or_b32 v78, v78, 15, 0x4b000000
	v_dual_add_f32 v79, 0xcb000008, v79 :: v_dual_add_f32 v78, 0xcb000008, v78
	s_delay_alu instid0(VALU_DEP_1) | instskip(NEXT) | instid1(VALU_DEP_1)
	v_lshrrev_b32_e32 v78, 16, v78
	v_and_or_b32 v77, 0xffff0000, v77, v78
	v_lshrrev_b32_e32 v78, 16, v80
	s_delay_alu instid0(VALU_DEP_1) | instskip(SKIP_1) | instid1(VALU_DEP_1)
	v_and_or_b32 v78, 0xffff0000, v79, v78
	v_ashrrev_i32_e32 v79, 16, v85
	v_lshrrev_b32_e32 v81, 4, v79
	v_and_or_b32 v80, v79, 15, 0x4b000000
	v_lshrrev_b32_e32 v82, 8, v79
	v_lshrrev_b32_e32 v79, 12, v79
	s_delay_alu instid0(VALU_DEP_4) | instskip(NEXT) | instid1(VALU_DEP_4)
	v_and_or_b32 v81, v81, 15, 0x4b000000
	v_add_f32_e32 v80, 0xcb000008, v80
	s_delay_alu instid0(VALU_DEP_4) | instskip(NEXT) | instid1(VALU_DEP_4)
	v_and_or_b32 v82, v82, 15, 0x4b000000
	v_and_or_b32 v79, v79, 15, 0x4b000000
	s_delay_alu instid0(VALU_DEP_2) | instskip(NEXT) | instid1(VALU_DEP_2)
	v_dual_add_f32 v81, 0xcb000008, v81 :: v_dual_add_f32 v82, 0xcb000008, v82
	v_add_f32_e32 v83, 0xcb000008, v79
	s_delay_alu instid0(VALU_DEP_2) | instskip(SKIP_1) | instid1(VALU_DEP_2)
	v_lshrrev_b32_e32 v79, 16, v81
	v_and_or_b32 v81, v86, 15, 0x4b000000
	v_and_or_b32 v79, 0xffff0000, v80, v79
	s_delay_alu instid0(VALU_DEP_4) | instskip(SKIP_1) | instid1(VALU_DEP_4)
	v_lshrrev_b32_e32 v80, 16, v83
	v_lshrrev_b32_e32 v83, 8, v86
	v_add_f32_e32 v81, 0xcb000008, v81
	s_delay_alu instid0(VALU_DEP_3) | instskip(SKIP_1) | instid1(VALU_DEP_4)
	v_and_or_b32 v80, 0xffff0000, v82, v80
	v_lshrrev_b32_e32 v82, 4, v86
	v_and_or_b32 v83, v83, 15, 0x4b000000
	s_delay_alu instid0(VALU_DEP_2) | instskip(NEXT) | instid1(VALU_DEP_1)
	v_and_or_b32 v82, v82, 15, 0x4b000000
	v_dual_add_f32 v83, 0xcb000008, v83 :: v_dual_add_f32 v82, 0xcb000008, v82
	s_delay_alu instid0(VALU_DEP_1) | instskip(NEXT) | instid1(VALU_DEP_1)
	v_lshrrev_b32_e32 v82, 16, v82
	v_and_or_b32 v81, 0xffff0000, v81, v82
	v_lshrrev_b32_e32 v82, 16, v84
	s_delay_alu instid0(VALU_DEP_1) | instskip(SKIP_1) | instid1(VALU_DEP_1)
	v_and_or_b32 v82, 0xffff0000, v83, v82
	v_ashrrev_i32_e32 v83, 16, v86
	v_lshrrev_b32_e32 v85, 4, v83
	v_and_or_b32 v84, v83, 15, 0x4b000000
	v_lshrrev_b32_e32 v86, 8, v83
	v_lshrrev_b32_e32 v83, 12, v83
	s_delay_alu instid0(VALU_DEP_4) | instskip(NEXT) | instid1(VALU_DEP_4)
	v_and_or_b32 v85, v85, 15, 0x4b000000
	v_add_f32_e32 v84, 0xcb000008, v84
	s_delay_alu instid0(VALU_DEP_4) | instskip(NEXT) | instid1(VALU_DEP_4)
	v_and_or_b32 v86, v86, 15, 0x4b000000
	v_and_or_b32 v83, v83, 15, 0x4b000000
	s_delay_alu instid0(VALU_DEP_2) | instskip(NEXT) | instid1(VALU_DEP_2)
	v_dual_add_f32 v85, 0xcb000008, v85 :: v_dual_add_f32 v86, 0xcb000008, v86
	v_add_f32_e32 v88, 0xcb000008, v83
	s_delay_alu instid0(VALU_DEP_2) | instskip(SKIP_1) | instid1(VALU_DEP_2)
	v_lshrrev_b32_e32 v83, 16, v85
	v_and_or_b32 v85, v87, 15, 0x4b000000
	v_and_or_b32 v83, 0xffff0000, v84, v83
	s_delay_alu instid0(VALU_DEP_4) | instskip(SKIP_1) | instid1(VALU_DEP_4)
	v_lshrrev_b32_e32 v84, 16, v88
	v_lshrrev_b32_e32 v88, 8, v87
	v_add_f32_e32 v85, 0xcb000008, v85
	s_delay_alu instid0(VALU_DEP_3) | instskip(SKIP_1) | instid1(VALU_DEP_4)
	v_and_or_b32 v84, 0xffff0000, v86, v84
	v_lshrrev_b32_e32 v86, 4, v87
	v_and_or_b32 v88, v88, 15, 0x4b000000
	v_ashrrev_i32_e32 v87, 16, v87
	s_delay_alu instid0(VALU_DEP_3) | instskip(NEXT) | instid1(VALU_DEP_3)
	v_and_or_b32 v86, v86, 15, 0x4b000000
	v_add_f32_e32 v88, 0xcb000008, v88
	s_delay_alu instid0(VALU_DEP_3) | instskip(NEXT) | instid1(VALU_DEP_3)
	v_lshrrev_b32_e32 v124, 8, v87
	v_add_f32_e32 v86, 0xcb000008, v86
	s_delay_alu instid0(VALU_DEP_2) | instskip(NEXT) | instid1(VALU_DEP_2)
	v_and_or_b32 v124, v124, 15, 0x4b000000
	v_lshrrev_b32_e32 v86, 16, v86
	s_delay_alu instid0(VALU_DEP_2) | instskip(NEXT) | instid1(VALU_DEP_2)
	v_add_f32_e32 v124, 0xcb000008, v124
	v_and_or_b32 v85, 0xffff0000, v85, v86
	v_lshrrev_b32_e32 v86, 16, v90
	v_lshrrev_b32_e32 v90, 4, v87
	s_delay_alu instid0(VALU_DEP_2) | instskip(SKIP_1) | instid1(VALU_DEP_3)
	v_and_or_b32 v86, 0xffff0000, v88, v86
	v_and_or_b32 v88, v87, 15, 0x4b000000
	;; [unrolled: 1-line block ×3, first 2 shown]
	v_lshrrev_b32_e32 v87, 12, v87
	s_delay_alu instid0(VALU_DEP_3) | instskip(NEXT) | instid1(VALU_DEP_3)
	v_add_f32_e32 v88, 0xcb000008, v88
	v_add_f32_e32 v90, 0xcb000008, v90
	s_delay_alu instid0(VALU_DEP_3) | instskip(NEXT) | instid1(VALU_DEP_1)
	v_and_or_b32 v87, v87, 15, 0x4b000000
	v_add_f32_e32 v125, 0xcb000008, v87
	s_delay_alu instid0(VALU_DEP_3) | instskip(NEXT) | instid1(VALU_DEP_1)
	v_lshrrev_b32_e32 v87, 16, v90
	v_and_or_b32 v87, 0xffff0000, v88, v87
	s_delay_alu instid0(VALU_DEP_3) | instskip(NEXT) | instid1(VALU_DEP_1)
	v_lshrrev_b32_e32 v88, 16, v125
	v_and_or_b32 v88, 0xffff0000, v124, v88
	ds_load_b128 v[124:127], v93 offset:4096
	s_wait_dscnt 0x0
	v_lshrrev_b32_e32 v128, 4, v124
	v_lshrrev_b32_e32 v129, 8, v124
	;; [unrolled: 1-line block ×3, first 2 shown]
	v_and_or_b32 v90, v124, 15, 0x4b000000
	v_lshrrev_b32_e32 v133, 12, v125
	v_and_or_b32 v128, v128, 15, 0x4b000000
	v_and_or_b32 v129, v129, 15, 0x4b000000
	v_and_or_b32 v130, v130, 15, 0x4b000000
	v_add_f32_e32 v90, 0xcb000008, v90
	v_and_or_b32 v133, v133, 15, 0x4b000000
	s_delay_alu instid0(VALU_DEP_4) | instskip(NEXT) | instid1(VALU_DEP_4)
	v_dual_add_f32 v128, 0xcb000008, v128 :: v_dual_add_f32 v129, 0xcb000008, v129
	v_add_f32_e32 v130, 0xcb000008, v130
	v_lshrrev_b32_e32 v132, 8, v125
	s_delay_alu instid0(VALU_DEP_4) | instskip(NEXT) | instid1(VALU_DEP_4)
	v_add_f32_e32 v133, 0xcb000008, v133
	v_lshrrev_b32_e32 v128, 16, v128
	v_lshrrev_b32_e32 v136, 12, v126
	s_delay_alu instid0(VALU_DEP_4) | instskip(NEXT) | instid1(VALU_DEP_3)
	v_and_or_b32 v132, v132, 15, 0x4b000000
	v_and_or_b32 v128, 0xffff0000, v90, v128
	v_lshrrev_b32_e32 v90, 16, v130
	s_delay_alu instid0(VALU_DEP_4) | instskip(NEXT) | instid1(VALU_DEP_4)
	v_and_or_b32 v136, v136, 15, 0x4b000000
	v_add_f32_e32 v134, 0xcb000008, v132
	s_delay_alu instid0(VALU_DEP_3) | instskip(SKIP_1) | instid1(VALU_DEP_4)
	v_and_or_b32 v129, 0xffff0000, v129, v90
	v_ashrrev_i32_e32 v90, 16, v124
	v_add_f32_e32 v137, 0xcb000008, v136
	s_delay_alu instid0(VALU_DEP_2) | instskip(SKIP_3) | instid1(VALU_DEP_4)
	v_lshrrev_b32_e32 v130, 4, v90
	v_and_or_b32 v124, v90, 15, 0x4b000000
	v_lshrrev_b32_e32 v131, 8, v90
	v_lshrrev_b32_e32 v90, 12, v90
	v_and_or_b32 v130, v130, 15, 0x4b000000
	s_delay_alu instid0(VALU_DEP_3) | instskip(NEXT) | instid1(VALU_DEP_3)
	v_and_or_b32 v131, v131, 15, 0x4b000000
	v_and_or_b32 v90, v90, 15, 0x4b000000
	v_add_f32_e32 v124, 0xcb000008, v124
	s_delay_alu instid0(VALU_DEP_3) | instskip(NEXT) | instid1(VALU_DEP_3)
	v_dual_add_f32 v130, 0xcb000008, v130 :: v_dual_add_f32 v131, 0xcb000008, v131
	v_add_f32_e32 v90, 0xcb000008, v90
	s_delay_alu instid0(VALU_DEP_2) | instskip(NEXT) | instid1(VALU_DEP_2)
	v_lshrrev_b32_e32 v130, 16, v130
	v_lshrrev_b32_e32 v90, 16, v90
	s_delay_alu instid0(VALU_DEP_2) | instskip(SKIP_1) | instid1(VALU_DEP_3)
	v_and_or_b32 v130, 0xffff0000, v124, v130
	v_lshrrev_b32_e32 v124, 4, v125
	v_and_or_b32 v131, 0xffff0000, v131, v90
	v_and_or_b32 v90, v125, 15, 0x4b000000
	s_delay_alu instid0(VALU_DEP_3) | instskip(NEXT) | instid1(VALU_DEP_2)
	v_and_or_b32 v124, v124, 15, 0x4b000000
	v_add_f32_e32 v90, 0xcb000008, v90
	s_delay_alu instid0(VALU_DEP_2) | instskip(NEXT) | instid1(VALU_DEP_1)
	v_add_f32_e32 v124, 0xcb000008, v124
	v_lshrrev_b32_e32 v124, 16, v124
	s_delay_alu instid0(VALU_DEP_1) | instskip(SKIP_1) | instid1(VALU_DEP_1)
	v_and_or_b32 v132, 0xffff0000, v90, v124
	v_lshrrev_b32_e32 v90, 16, v133
	v_and_or_b32 v133, 0xffff0000, v134, v90
	v_ashrrev_i32_e32 v90, 16, v125
	s_delay_alu instid0(VALU_DEP_1) | instskip(SKIP_3) | instid1(VALU_DEP_4)
	v_lshrrev_b32_e32 v125, 4, v90
	v_and_or_b32 v124, v90, 15, 0x4b000000
	v_lshrrev_b32_e32 v134, 8, v90
	v_lshrrev_b32_e32 v90, 12, v90
	v_and_or_b32 v125, v125, 15, 0x4b000000
	s_delay_alu instid0(VALU_DEP_4) | instskip(NEXT) | instid1(VALU_DEP_4)
	v_add_f32_e32 v124, 0xcb000008, v124
	v_and_or_b32 v134, v134, 15, 0x4b000000
	s_delay_alu instid0(VALU_DEP_4) | instskip(NEXT) | instid1(VALU_DEP_4)
	v_and_or_b32 v90, v90, 15, 0x4b000000
	v_add_f32_e32 v125, 0xcb000008, v125
	s_delay_alu instid0(VALU_DEP_3) | instskip(NEXT) | instid1(VALU_DEP_3)
	v_add_f32_e32 v135, 0xcb000008, v134
	v_add_f32_e32 v90, 0xcb000008, v90
	s_delay_alu instid0(VALU_DEP_3) | instskip(NEXT) | instid1(VALU_DEP_2)
	v_lshrrev_b32_e32 v125, 16, v125
	v_lshrrev_b32_e32 v90, 16, v90
	s_delay_alu instid0(VALU_DEP_2) | instskip(SKIP_2) | instid1(VALU_DEP_4)
	v_and_or_b32 v134, 0xffff0000, v124, v125
	v_lshrrev_b32_e32 v124, 4, v126
	v_lshrrev_b32_e32 v125, 8, v126
	v_and_or_b32 v135, 0xffff0000, v135, v90
	v_and_or_b32 v90, v126, 15, 0x4b000000
	s_delay_alu instid0(VALU_DEP_4) | instskip(NEXT) | instid1(VALU_DEP_4)
	v_and_or_b32 v124, v124, 15, 0x4b000000
	v_and_or_b32 v125, v125, 15, 0x4b000000
	s_delay_alu instid0(VALU_DEP_3) | instskip(NEXT) | instid1(VALU_DEP_2)
	v_add_f32_e32 v90, 0xcb000008, v90
	v_dual_add_f32 v124, 0xcb000008, v124 :: v_dual_add_f32 v125, 0xcb000008, v125
	s_delay_alu instid0(VALU_DEP_1) | instskip(NEXT) | instid1(VALU_DEP_1)
	v_lshrrev_b32_e32 v124, 16, v124
	v_and_or_b32 v136, 0xffff0000, v90, v124
	v_lshrrev_b32_e32 v90, 16, v137
	s_delay_alu instid0(VALU_DEP_1) | instskip(SKIP_1) | instid1(VALU_DEP_1)
	v_and_or_b32 v137, 0xffff0000, v125, v90
	v_ashrrev_i32_e32 v90, 16, v126
	v_lshrrev_b32_e32 v125, 4, v90
	v_and_or_b32 v124, v90, 15, 0x4b000000
	v_lshrrev_b32_e32 v126, 8, v90
	v_lshrrev_b32_e32 v90, 12, v90
	s_delay_alu instid0(VALU_DEP_4) | instskip(NEXT) | instid1(VALU_DEP_4)
	v_and_or_b32 v125, v125, 15, 0x4b000000
	v_add_f32_e32 v124, 0xcb000008, v124
	s_delay_alu instid0(VALU_DEP_4) | instskip(NEXT) | instid1(VALU_DEP_4)
	v_and_or_b32 v126, v126, 15, 0x4b000000
	v_and_or_b32 v90, v90, 15, 0x4b000000
	s_delay_alu instid0(VALU_DEP_2) | instskip(NEXT) | instid1(VALU_DEP_2)
	v_dual_add_f32 v125, 0xcb000008, v125 :: v_dual_add_f32 v126, 0xcb000008, v126
	v_add_f32_e32 v90, 0xcb000008, v90
	s_delay_alu instid0(VALU_DEP_2) | instskip(NEXT) | instid1(VALU_DEP_2)
	v_lshrrev_b32_e32 v125, 16, v125
	v_lshrrev_b32_e32 v90, 16, v90
	s_delay_alu instid0(VALU_DEP_2) | instskip(SKIP_2) | instid1(VALU_DEP_4)
	v_and_or_b32 v138, 0xffff0000, v124, v125
	v_lshrrev_b32_e32 v124, 4, v127
	v_lshrrev_b32_e32 v125, 8, v127
	v_and_or_b32 v139, 0xffff0000, v126, v90
	v_lshrrev_b32_e32 v126, 12, v127
	v_and_or_b32 v90, v127, 15, 0x4b000000
	v_and_or_b32 v124, v124, 15, 0x4b000000
	;; [unrolled: 1-line block ×3, first 2 shown]
	s_delay_alu instid0(VALU_DEP_4) | instskip(NEXT) | instid1(VALU_DEP_4)
	v_and_or_b32 v126, v126, 15, 0x4b000000
	v_add_f32_e32 v90, 0xcb000008, v90
	s_delay_alu instid0(VALU_DEP_3) | instskip(NEXT) | instid1(VALU_DEP_3)
	v_dual_add_f32 v124, 0xcb000008, v124 :: v_dual_add_f32 v125, 0xcb000008, v125
	v_add_f32_e32 v126, 0xcb000008, v126
	s_delay_alu instid0(VALU_DEP_2) | instskip(NEXT) | instid1(VALU_DEP_1)
	v_lshrrev_b32_e32 v124, 16, v124
	v_and_or_b32 v124, 0xffff0000, v90, v124
	s_delay_alu instid0(VALU_DEP_3) | instskip(NEXT) | instid1(VALU_DEP_1)
	v_lshrrev_b32_e32 v90, 16, v126
	v_and_or_b32 v125, 0xffff0000, v125, v90
	v_ashrrev_i32_e32 v90, 16, v127
	s_delay_alu instid0(VALU_DEP_1) | instskip(SKIP_3) | instid1(VALU_DEP_4)
	v_and_or_b32 v126, v90, 15, 0x4b000000
	v_lshrrev_b32_e32 v127, 4, v90
	v_lshrrev_b32_e32 v140, 8, v90
	;; [unrolled: 1-line block ×3, first 2 shown]
	v_add_f32_e32 v126, 0xcb000008, v126
	s_delay_alu instid0(VALU_DEP_4) | instskip(NEXT) | instid1(VALU_DEP_4)
	v_and_or_b32 v127, v127, 15, 0x4b000000
	v_and_or_b32 v140, v140, 15, 0x4b000000
	s_delay_alu instid0(VALU_DEP_4) | instskip(NEXT) | instid1(VALU_DEP_2)
	v_and_or_b32 v90, v90, 15, 0x4b000000
	v_dual_add_f32 v127, 0xcb000008, v127 :: v_dual_add_f32 v140, 0xcb000008, v140
	s_delay_alu instid0(VALU_DEP_2) | instskip(NEXT) | instid1(VALU_DEP_2)
	v_add_f32_e32 v90, 0xcb000008, v90
	v_lshrrev_b32_e32 v127, 16, v127
	s_delay_alu instid0(VALU_DEP_2) | instskip(NEXT) | instid1(VALU_DEP_2)
	v_lshrrev_b32_e32 v90, 16, v90
	v_and_or_b32 v126, 0xffff0000, v126, v127
	s_delay_alu instid0(VALU_DEP_2) | instskip(SKIP_3) | instid1(VALU_DEP_1)
	v_and_or_b32 v127, 0xffff0000, v140, v90
	; sched_barrier mask(0x00000000)
	s_barrier_signal -1
	s_barrier_wait -1
	; sched_barrier mask(0x00000000)
	v_wmma_f32_16x16x16_bf16 v[1:8], v[73:76], v[69:72], v[1:8]
	v_wmma_f32_16x16x16_bf16 v[1:8], v[77:80], v[65:68], v[1:8]
	s_delay_alu instid0(VALU_DEP_1) | instskip(NEXT) | instid1(VALU_DEP_1)
	v_wmma_f32_16x16x16_bf16 v[1:8], v[81:84], v[61:64], v[1:8]
	v_wmma_f32_16x16x16_bf16 v[1:8], v[85:88], v[57:60], v[1:8]
	; sched_barrier mask(0x00000000)
	s_setprio 1
	; sched_barrier mask(0x00000000)
	; sched_barrier mask(0x00000000)
	s_wait_dscnt 0x0
	s_barrier_signal -1
	s_barrier_wait -1
	; sched_barrier mask(0x00000000)
	v_wmma_f32_16x16x16_bf16 v[1:8], v[128:131], v[37:40], v[1:8]
	s_delay_alu instid0(VALU_DEP_1) | instskip(NEXT) | instid1(VALU_DEP_1)
	v_wmma_f32_16x16x16_bf16 v[1:8], v[132:135], v[33:36], v[1:8]
	v_wmma_f32_16x16x16_bf16 v[1:8], v[136:139], v[29:32], v[1:8]
	s_delay_alu instid0(VALU_DEP_1)
	v_wmma_f32_16x16x16_bf16 v[1:8], v[124:127], v[25:28], v[1:8]
	; sched_barrier mask(0x00000000)
	s_setprio 0
	; sched_barrier mask(0x00000000)
	v_add_nc_u32_e32 v25, 0x80, v89
	v_lshrrev_b32_e32 v26, 31, v89
	v_sub_nc_u32_e32 v57, v122, v110
	v_lshlrev_b32_e32 v61, 1, v117
	v_add_nc_u32_e64 v65, 5, s21
	v_lshrrev_b32_e32 v27, 31, v25
	v_add_nc_u32_e32 v26, v89, v26
	v_lshlrev_b32_e32 v60, 3, v57
	v_lshrrev_b32_e32 v57, 31, v109
	v_add_nc_u32_e32 v58, v121, v61
	v_add_nc_u32_e32 v25, v25, v27
	;; [unrolled: 1-line block ×3, first 2 shown]
	v_ashrrev_i32_e32 v26, 1, v26
	v_add_nc_u32_e32 v63, 0x80, v60
	v_add_nc_u32_e32 v57, v109, v57
	v_ashrrev_i32_e32 v25, 1, v25
	s_clause 0x1
	buffer_load_b128 v[37:40], v118, s[8:11], null offen offset:1024
	buffer_load_b128 v[33:36], v27, s[8:11], null offen
	s_clause 0x1
	buffer_load_b128 v[29:32], v26, s[0:3], null offen
	buffer_load_b128 v[25:28], v25, s[0:3], null offen
	v_lshlrev_b32_e32 v62, 1, v63
	v_ashrrev_i32_e32 v59, 1, v57
	v_add3_u32 v66, v120, v63, v117
	s_delay_alu instid0(VALU_DEP_3)
	v_add_nc_u32_e32 v64, v58, v62
	s_wait_loadcnt 0xb
	ds_store_b128 v58, v[9:12]
	s_wait_loadcnt 0xa
	ds_store_b128 v64, v[13:16]
	s_wait_loadcnt 0x9
	ds_store_b128 v59, v[21:24] offset:4096
	s_wait_loadcnt 0x8
	ds_store_b128 v104, v[17:20] offset:4096
	s_wait_dscnt 0x0
	s_barrier_signal -1
	s_barrier_wait -1
	ds_load_b128 v[9:12], v102 offset:4096
	v_sub_nc_u32_e32 v13, v65, v123
	s_delay_alu instid0(VALU_DEP_1)
	v_mad_co_u64_u32 v[57:58], null, v13, s12, v[89:90]
	ds_load_b128 v[13:16], v94
	ds_load_b128 v[17:20], v95
	;; [unrolled: 1-line block ×6, first 2 shown]
	ds_load_b128 v[79:82], v93 offset:4096
	ds_load_b128 v[83:86], v100
	ds_load_b128 v[87:90], v101
	s_wait_dscnt 0x9
	v_lshrrev_b32_e32 v58, 4, v9
	v_lshrrev_b32_e32 v120, 8, v9
	;; [unrolled: 1-line block ×3, first 2 shown]
	v_ashrrev_i32_e32 v122, 16, v9
	v_and_or_b32 v9, v9, 15, 0x4b000000
	v_and_or_b32 v58, v58, 15, 0x4b000000
	;; [unrolled: 1-line block ×4, first 2 shown]
	v_lshrrev_b32_e32 v123, 4, v122
	v_lshrrev_b32_e32 v125, 8, v122
	v_add_f32_e32 v58, 0xcb000008, v58
	v_add_f32_e32 v124, 0xcb000008, v120
	;; [unrolled: 1-line block ×3, first 2 shown]
	v_and_or_b32 v121, v123, 15, 0x4b000000
	v_lshrrev_b32_e32 v123, 12, v122
	v_add_f32_e32 v9, 0xcb000008, v9
	v_lshrrev_b32_e32 v58, 16, v58
	v_lshrrev_b32_e32 v126, 16, v120
	v_add_f32_e32 v121, 0xcb000008, v121
	v_and_or_b32 v123, v123, 15, 0x4b000000
	v_and_or_b32 v125, v125, 15, 0x4b000000
	;; [unrolled: 1-line block ×4, first 2 shown]
	v_lshrrev_b32_e32 v127, 16, v121
	v_add_f32_e32 v9, 0xcb000008, v123
	v_and_or_b32 v121, 0xffff0000, v124, v126
	v_add_f32_e32 v58, 0xcb000008, v125
	v_lshrrev_b32_e32 v123, 4, v10
	v_lshrrev_b32_e32 v124, 8, v10
	;; [unrolled: 1-line block ×3, first 2 shown]
	v_add_f32_e32 v122, 0xcb000008, v122
	v_and_or_b32 v126, v10, 15, 0x4b000000
	v_and_or_b32 v123, v123, 15, 0x4b000000
	v_ashrrev_i32_e32 v10, 16, v10
	v_and_or_b32 v124, v124, 15, 0x4b000000
	v_and_or_b32 v125, v125, 15, 0x4b000000
	;; [unrolled: 1-line block ×3, first 2 shown]
	v_add_f32_e32 v123, 0xcb000008, v123
	v_lshrrev_b32_e32 v127, 4, v10
	v_lshrrev_b32_e32 v128, 12, v10
	v_dual_add_f32 v129, 0xcb000008, v124 :: v_dual_add_f32 v124, 0xcb000008, v125
	v_lshrrev_b32_e32 v125, 8, v10
	v_lshrrev_b32_e32 v9, 16, v9
	v_and_or_b32 v127, v127, 15, 0x4b000000
	v_and_or_b32 v128, v128, 15, 0x4b000000
	v_lshrrev_b32_e32 v130, 16, v123
	v_and_or_b32 v123, v125, 15, 0x4b000000
	v_add_f32_e32 v126, 0xcb000008, v126
	v_and_or_b32 v10, v10, 15, 0x4b000000
	v_add_f32_e32 v125, 0xcb000008, v127
	v_add_f32_e32 v127, 0xcb000008, v128
	;; [unrolled: 1-line block ×3, first 2 shown]
	v_and_or_b32 v123, 0xffff0000, v58, v9
	v_lshrrev_b32_e32 v9, 4, v11
	v_lshrrev_b32_e32 v128, 16, v124
	;; [unrolled: 1-line block ×3, first 2 shown]
	v_and_or_b32 v124, 0xffff0000, v126, v130
	v_lshrrev_b32_e32 v58, 12, v11
	v_and_or_b32 v9, v9, 15, 0x4b000000
	v_add_f32_e32 v10, 0xcb000008, v10
	v_and_or_b32 v125, 0xffff0000, v129, v128
	v_and_or_b32 v128, v11, 15, 0x4b000000
	v_lshrrev_b32_e32 v127, 16, v127
	v_add_f32_e32 v9, 0xcb000008, v9
	v_and_or_b32 v126, 0xffff0000, v10, v132
	v_lshrrev_b32_e32 v10, 8, v11
	v_ashrrev_i32_e32 v11, 16, v11
	v_and_or_b32 v58, v58, 15, 0x4b000000
	v_lshrrev_b32_e32 v9, 16, v9
	v_and_or_b32 v127, 0xffff0000, v131, v127
	v_and_or_b32 v10, v10, 15, 0x4b000000
	v_lshrrev_b32_e32 v129, 4, v11
	v_lshrrev_b32_e32 v130, 12, v11
	;; [unrolled: 1-line block ×3, first 2 shown]
	v_and_or_b32 v11, v11, 15, 0x4b000000
	s_wait_dscnt 0x2
	v_and_or_b32 v135, v79, 15, 0x4b000000
	v_and_or_b32 v129, v129, 15, 0x4b000000
	v_add_f32_e32 v128, 0xcb000008, v128
	v_and_or_b32 v130, v130, 15, 0x4b000000
	v_and_or_b32 v131, v131, 15, 0x4b000000
	s_delay_alu instid0(VALU_DEP_4) | instskip(NEXT) | instid1(VALU_DEP_4)
	v_dual_add_f32 v10, 0xcb000008, v10 :: v_dual_add_f32 v129, 0xcb000008, v129
	v_and_or_b32 v128, 0xffff0000, v128, v9
	v_lshrrev_b32_e32 v9, 4, v12
	v_dual_add_f32 v130, 0xcb000008, v130 :: v_dual_add_f32 v11, 0xcb000008, v11
	s_delay_alu instid0(VALU_DEP_4) | instskip(SKIP_1) | instid1(VALU_DEP_4)
	v_lshrrev_b32_e32 v132, 16, v129
	v_add_f32_e32 v131, 0xcb000008, v131
	v_and_or_b32 v9, v9, 15, 0x4b000000
	v_add_f32_e32 v58, 0xcb000008, v58
	v_lshrrev_b32_e32 v133, 16, v130
	v_and_or_b32 v130, 0xffff0000, v11, v132
	v_lshrrev_b32_e32 v11, 12, v12
	v_add_f32_e32 v9, 0xcb000008, v9
	v_lshrrev_b32_e32 v58, 16, v58
	v_and_or_b32 v131, 0xffff0000, v131, v133
	v_add_f32_e32 v135, 0xcb000008, v135
	v_and_or_b32 v11, v11, 15, 0x4b000000
	v_lshrrev_b32_e32 v9, 16, v9
	v_and_or_b32 v129, 0xffff0000, v10, v58
	v_ashrrev_i32_e32 v58, 16, v12
	v_lshrrev_b32_e32 v10, 8, v12
	v_and_or_b32 v12, v12, 15, 0x4b000000
	v_add_f32_e32 v11, 0xcb000008, v11
	s_delay_alu instid0(VALU_DEP_4) | instskip(NEXT) | instid1(VALU_DEP_4)
	v_lshrrev_b32_e32 v132, 4, v58
	v_and_or_b32 v10, v10, 15, 0x4b000000
	v_lshrrev_b32_e32 v133, 12, v58
	v_lshrrev_b32_e32 v134, 8, v58
	v_and_or_b32 v58, v58, 15, 0x4b000000
	v_and_or_b32 v132, v132, 15, 0x4b000000
	v_add_f32_e32 v10, 0xcb000008, v10
	v_lshrrev_b32_e32 v11, 16, v11
	v_and_or_b32 v133, v133, 15, 0x4b000000
	v_and_or_b32 v134, v134, 15, 0x4b000000
	v_add_f32_e32 v132, 0xcb000008, v132
	v_add_f32_e32 v12, 0xcb000008, v12
	;; [unrolled: 1-line block ×3, first 2 shown]
	v_and_or_b32 v10, 0xffff0000, v10, v11
	s_delay_alu instid0(VALU_DEP_4) | instskip(NEXT) | instid1(VALU_DEP_4)
	v_lshrrev_b32_e32 v132, 16, v132
	v_and_or_b32 v9, 0xffff0000, v12, v9
	v_dual_add_f32 v12, 0xcb000008, v133 :: v_dual_add_f32 v133, 0xcb000008, v134
	v_lshrrev_b32_e32 v134, 12, v79
	s_delay_alu instid0(VALU_DEP_4) | instskip(SKIP_4) | instid1(VALU_DEP_4)
	v_and_or_b32 v11, 0xffff0000, v58, v132
	v_lshrrev_b32_e32 v58, 4, v79
	v_lshrrev_b32_e32 v132, 8, v79
	v_ashrrev_i32_e32 v79, 16, v79
	v_and_or_b32 v134, v134, 15, 0x4b000000
	v_and_or_b32 v58, v58, 15, 0x4b000000
	s_delay_alu instid0(VALU_DEP_4) | instskip(NEXT) | instid1(VALU_DEP_4)
	v_and_or_b32 v132, v132, 15, 0x4b000000
	v_lshrrev_b32_e32 v136, 4, v79
	v_lshrrev_b32_e32 v137, 12, v79
	s_delay_alu instid0(VALU_DEP_3)
	v_add_f32_e32 v138, 0xcb000008, v132
	v_add_f32_e32 v132, 0xcb000008, v134
	v_lshrrev_b32_e32 v134, 8, v79
	v_and_or_b32 v136, v136, 15, 0x4b000000
	v_and_or_b32 v137, v137, 15, 0x4b000000
	v_and_or_b32 v79, v79, 15, 0x4b000000
	v_lshrrev_b32_e32 v139, 16, v132
	v_and_or_b32 v134, v134, 15, 0x4b000000
	s_delay_alu instid0(VALU_DEP_4) | instskip(NEXT) | instid1(VALU_DEP_2)
	v_dual_add_f32 v136, 0xcb000008, v136 :: v_dual_add_f32 v137, 0xcb000008, v137
	v_dual_add_f32 v79, 0xcb000008, v79 :: v_dual_add_f32 v140, 0xcb000008, v134
	s_delay_alu instid0(VALU_DEP_2) | instskip(NEXT) | instid1(VALU_DEP_3)
	v_lshrrev_b32_e32 v134, 16, v136
	v_lshrrev_b32_e32 v136, 16, v137
	v_and_or_b32 v137, v80, 15, 0x4b000000
	v_add_f32_e32 v58, 0xcb000008, v58
	s_delay_alu instid0(VALU_DEP_4) | instskip(SKIP_1) | instid1(VALU_DEP_4)
	v_and_or_b32 v134, 0xffff0000, v79, v134
	v_lshrrev_b32_e32 v79, 8, v80
	v_add_f32_e32 v137, 0xcb000008, v137
	s_delay_alu instid0(VALU_DEP_4) | instskip(NEXT) | instid1(VALU_DEP_3)
	v_lshrrev_b32_e32 v58, 16, v58
	v_and_or_b32 v79, v79, 15, 0x4b000000
	s_delay_alu instid0(VALU_DEP_2)
	v_and_or_b32 v132, 0xffff0000, v135, v58
	v_and_or_b32 v135, 0xffff0000, v140, v136
	v_lshrrev_b32_e32 v58, 4, v80
	v_lshrrev_b32_e32 v136, 12, v80
	v_ashrrev_i32_e32 v80, 16, v80
	v_add_f32_e32 v79, 0xcb000008, v79
	v_lshrrev_b32_e32 v12, 16, v12
	v_and_or_b32 v58, v58, 15, 0x4b000000
	v_and_or_b32 v136, v136, 15, 0x4b000000
	v_lshrrev_b32_e32 v140, 8, v80
	s_delay_alu instid0(VALU_DEP_4)
	v_and_or_b32 v12, 0xffff0000, v133, v12
	v_and_or_b32 v133, 0xffff0000, v138, v139
	v_lshrrev_b32_e32 v138, 4, v80
	v_lshrrev_b32_e32 v139, 12, v80
	v_add_f32_e32 v58, 0xcb000008, v58
	v_add_f32_e32 v136, 0xcb000008, v136
	v_and_or_b32 v80, v80, 15, 0x4b000000
	v_and_or_b32 v138, v138, 15, 0x4b000000
	;; [unrolled: 1-line block ×4, first 2 shown]
	v_lshrrev_b32_e32 v58, 16, v58
	v_lshrrev_b32_e32 v141, 16, v136
	s_delay_alu instid0(VALU_DEP_4) | instskip(SKIP_3) | instid1(VALU_DEP_4)
	v_dual_add_f32 v138, 0xcb000008, v138 :: v_dual_add_f32 v139, 0xcb000008, v139
	v_add_f32_e32 v80, 0xcb000008, v80
	v_add_f32_e32 v140, 0xcb000008, v140
	v_and_or_b32 v136, 0xffff0000, v137, v58
	v_lshrrev_b32_e32 v138, 16, v138
	v_lshrrev_b32_e32 v139, 16, v139
	v_and_or_b32 v137, 0xffff0000, v79, v141
	v_lshrrev_b32_e32 v79, 8, v81
	v_lshrrev_b32_e32 v58, 4, v81
	v_and_or_b32 v138, 0xffff0000, v80, v138
	v_and_or_b32 v139, 0xffff0000, v140, v139
	v_lshrrev_b32_e32 v80, 12, v81
	v_ashrrev_i32_e32 v140, 16, v81
	v_and_or_b32 v79, v79, 15, 0x4b000000
	v_and_or_b32 v58, v58, 15, 0x4b000000
	v_and_or_b32 v81, v81, 15, 0x4b000000
	v_and_or_b32 v80, v80, 15, 0x4b000000
	v_lshrrev_b32_e32 v141, 4, v140
	v_add_f32_e32 v142, 0xcb000008, v79
	v_add_f32_e32 v58, 0xcb000008, v58
	v_lshrrev_b32_e32 v143, 8, v140
	v_add_f32_e32 v79, 0xcb000008, v80
	v_and_or_b32 v80, v141, 15, 0x4b000000
	v_lshrrev_b32_e32 v141, 12, v140
	v_and_or_b32 v140, v140, 15, 0x4b000000
	v_add_f32_e32 v81, 0xcb000008, v81
	v_lshrrev_b32_e32 v58, 16, v58
	v_add_f32_e32 v80, 0xcb000008, v80
	v_lshrrev_b32_e32 v144, 16, v79
	v_and_or_b32 v141, v141, 15, 0x4b000000
	v_and_or_b32 v143, v143, 15, 0x4b000000
	v_add_f32_e32 v140, 0xcb000008, v140
	v_lshrrev_b32_e32 v145, 16, v80
	v_and_or_b32 v79, 0xffff0000, v81, v58
	v_add_f32_e32 v58, 0xcb000008, v141
	v_and_or_b32 v80, 0xffff0000, v142, v144
	v_add_f32_e32 v141, 0xcb000008, v143
	v_and_or_b32 v81, 0xffff0000, v140, v145
	v_lshrrev_b32_e32 v140, 4, v82
	v_lshrrev_b32_e32 v142, 8, v82
	;; [unrolled: 1-line block ×3, first 2 shown]
	v_and_or_b32 v144, v82, 15, 0x4b000000
	v_ashrrev_i32_e32 v82, 16, v82
	v_and_or_b32 v140, v140, 15, 0x4b000000
	v_and_or_b32 v142, v142, 15, 0x4b000000
	;; [unrolled: 1-line block ×3, first 2 shown]
	v_lshrrev_b32_e32 v58, 16, v58
	v_lshrrev_b32_e32 v145, 4, v82
	;; [unrolled: 1-line block ×4, first 2 shown]
	v_dual_add_f32 v140, 0xcb000008, v140 :: v_dual_add_f32 v143, 0xcb000008, v143
	s_delay_alu instid0(VALU_DEP_4) | instskip(NEXT) | instid1(VALU_DEP_4)
	v_and_or_b32 v145, v145, 15, 0x4b000000
	v_and_or_b32 v146, v146, 15, 0x4b000000
	;; [unrolled: 1-line block ×4, first 2 shown]
	s_delay_alu instid0(VALU_DEP_4) | instskip(NEXT) | instid1(VALU_DEP_4)
	v_dual_add_f32 v144, 0xcb000008, v144 :: v_dual_add_f32 v145, 0xcb000008, v145
	v_add_f32_e32 v146, 0xcb000008, v146
	v_add_f32_e32 v142, 0xcb000008, v142
	v_lshrrev_b32_e32 v140, 16, v140
	v_lshrrev_b32_e32 v143, 16, v143
	v_dual_add_f32 v148, 0xcb000008, v82 :: v_dual_add_f32 v147, 0xcb000008, v147
	v_lshrrev_b32_e32 v145, 16, v145
	v_lshrrev_b32_e32 v146, 16, v146
	v_and_or_b32 v82, 0xffff0000, v141, v58
	v_and_or_b32 v140, 0xffff0000, v144, v140
	;; [unrolled: 1-line block ×5, first 2 shown]
	; sched_barrier mask(0x00000000)
	s_barrier_signal -1
	s_barrier_wait -1
	; sched_barrier mask(0x00000000)
	v_wmma_f32_16x16x16_bf16 v[1:8], v[120:123], v[13:16], v[1:8]
	s_delay_alu instid0(VALU_DEP_1) | instskip(NEXT) | instid1(VALU_DEP_1)
	v_wmma_f32_16x16x16_bf16 v[1:8], v[124:127], v[17:20], v[1:8]
	v_wmma_f32_16x16x16_bf16 v[1:8], v[128:131], v[21:24], v[1:8]
	s_delay_alu instid0(VALU_DEP_1)
	v_wmma_f32_16x16x16_bf16 v[1:8], v[9:12], v[67:70], v[1:8]
	; sched_barrier mask(0x00000000)
	s_setprio 1
	; sched_barrier mask(0x00000000)
	; sched_barrier mask(0x00000000)
	s_wait_dscnt 0x0
	s_barrier_signal -1
	s_barrier_wait -1
	; sched_barrier mask(0x00000000)
	v_wmma_f32_16x16x16_bf16 v[1:8], v[132:135], v[71:74], v[1:8]
	s_delay_alu instid0(VALU_DEP_1) | instskip(NEXT) | instid1(VALU_DEP_1)
	v_wmma_f32_16x16x16_bf16 v[1:8], v[136:139], v[75:78], v[1:8]
	v_wmma_f32_16x16x16_bf16 v[1:8], v[79:82], v[83:86], v[1:8]
	s_delay_alu instid0(VALU_DEP_1)
	v_wmma_f32_16x16x16_bf16 v[1:8], v[140:143], v[87:90], v[1:8]
	; sched_barrier mask(0x00000000)
	s_setprio 0
	; sched_barrier mask(0x00000000)
	v_add_nc_u32_e32 v9, 0x80, v57
	v_lshrrev_b32_e32 v10, 31, v57
	v_add_nc_u32_e64 v58, 6, s21
	v_add_nc_u32_e32 v64, v64, v61
	v_add_nc_u32_e32 v106, 12, v106
	v_lshrrev_b32_e32 v11, 31, v9
	v_add_nc_u32_e32 v10, v57, v10
	v_sub_nc_u32_e32 v58, v58, v65
	v_add3_u32 v61, v66, v63, v117
	v_add_nc_u32_e32 v107, v107, v112
	v_add_nc_u32_e32 v9, v9, v11
	v_ashrrev_i32_e32 v17, 1, v10
	v_mad_co_u64_u32 v[57:58], null, v58, s12, v[57:58]
	v_add_nc_u32_e32 v116, 0x300, v116
	s_delay_alu instid0(VALU_DEP_4)
	v_ashrrev_i32_e32 v18, 1, v9
	v_add_nc_u32_e32 v113, 0x300, v113
	s_clause 0x1
	buffer_load_b128 v[9:12], v118, s[8:11], null offen offset:1280
	buffer_load_b128 v[13:16], v119, s[8:11], null offen
	s_clause 0x1
	buffer_load_b128 v[21:24], v17, s[0:3], null offen
	buffer_load_b128 v[17:20], v18, s[0:3], null offen
	v_add_nc_u32_e32 v62, v64, v62
	v_lshrrev_b32_e32 v58, 2, v106
	s_add_co_i32 s21, s21, 3
	s_wait_loadcnt 0xb
	ds_store_b128 v64, v[41:44]
	s_wait_loadcnt 0xa
	ds_store_b128 v62, v[45:48]
	s_wait_loadcnt 0x9
	ds_store_b128 v59, v[49:52] offset:4096
	s_wait_loadcnt 0x8
	ds_store_b128 v104, v[53:56] offset:4096
	s_wait_alu 0xfffe
	s_cmp_lt_i32 s21, s7
	s_cbranch_scc1 .LBB6_12
; %bb.13:
	s_wait_dscnt 0x0
	s_barrier_signal -1
	s_barrier_wait -1
	ds_load_b128 v[49:52], v102 offset:4096
	ds_load_b128 v[53:56], v94
	ds_load_b128 v[63:66], v95
	;; [unrolled: 1-line block ×8, first 2 shown]
	ds_load_b128 v[83:86], v93 offset:4096
	s_lshl_b64 s[0:1], s[18:19], 1
	s_delay_alu instid0(SALU_CYCLE_1)
	s_add_nc_u64 s[2:3], s[16:17], s[0:1]
	s_wait_dscnt 0x9
	v_lshrrev_b32_e32 v58, 4, v49
	v_and_or_b32 v57, v49, 15, 0x4b000000
	v_lshrrev_b32_e32 v61, 8, v49
	v_lshrrev_b32_e32 v87, 12, v49
	v_ashrrev_i32_e32 v49, 16, v49
	v_and_or_b32 v58, v58, 15, 0x4b000000
	v_add_f32_e32 v57, 0xcb000008, v57
	v_and_or_b32 v61, v61, 15, 0x4b000000
	v_and_or_b32 v87, v87, 15, 0x4b000000
	v_lshrrev_b32_e32 v88, 4, v49
	v_add_f32_e32 v58, 0xcb000008, v58
	v_lshrrev_b32_e32 v90, 4, v50
	v_lshrrev_b32_e32 v105, 8, v50
	v_add_f32_e32 v87, 0xcb000008, v87
	v_and_or_b32 v88, v88, 15, 0x4b000000
	v_lshrrev_b32_e32 v58, 16, v58
	v_lshrrev_b32_e32 v106, 12, v50
	v_add_f32_e32 v61, 0xcb000008, v61
	v_lshrrev_b32_e32 v108, 16, v87
	v_add_f32_e32 v88, 0xcb000008, v88
	v_and_or_b32 v87, 0xffff0000, v57, v58
	v_and_or_b32 v57, v50, 15, 0x4b000000
	v_ashrrev_i32_e32 v50, 16, v50
	v_and_or_b32 v89, v49, 15, 0x4b000000
	v_lshrrev_b32_e32 v107, 8, v49
	v_lshrrev_b32_e32 v49, 12, v49
	;; [unrolled: 1-line block ×3, first 2 shown]
	v_and_or_b32 v88, 0xffff0000, v61, v108
	v_and_or_b32 v58, v90, 15, 0x4b000000
	;; [unrolled: 1-line block ×3, first 2 shown]
	v_lshrrev_b32_e32 v105, 4, v50
	v_and_or_b32 v49, v49, 15, 0x4b000000
	v_and_or_b32 v90, v106, 15, 0x4b000000
	v_add_f32_e32 v58, 0xcb000008, v58
	v_lshrrev_b32_e32 v106, 12, v50
	v_lshrrev_b32_e32 v108, 8, v50
	v_and_or_b32 v105, v105, 15, 0x4b000000
	v_and_or_b32 v107, v107, 15, 0x4b000000
	v_lshrrev_b32_e32 v58, 16, v58
	v_and_or_b32 v106, v106, 15, 0x4b000000
	v_add_f32_e32 v49, 0xcb000008, v49
	v_and_or_b32 v50, v50, 15, 0x4b000000
	v_and_or_b32 v108, v108, 15, 0x4b000000
	v_add_f32_e32 v57, 0xcb000008, v57
	v_add_f32_e32 v105, 0xcb000008, v105
	v_dual_add_f32 v89, 0xcb000008, v89 :: v_dual_add_f32 v90, 0xcb000008, v90
	v_dual_add_f32 v107, 0xcb000008, v107 :: v_dual_add_f32 v50, 0xcb000008, v50
	v_add_f32_e32 v106, 0xcb000008, v106
	v_lshrrev_b32_e32 v49, 16, v49
	v_add_f32_e32 v108, 0xcb000008, v108
	v_lshrrev_b32_e32 v110, 16, v105
	v_and_or_b32 v105, 0xffff0000, v57, v58
	v_lshrrev_b32_e32 v57, 12, v51
	v_and_or_b32 v89, 0xffff0000, v89, v109
	;; [unrolled: 2-line block ×3, first 2 shown]
	v_and_or_b32 v107, 0xffff0000, v50, v110
	v_lshrrev_b32_e32 v49, 4, v51
	v_lshrrev_b32_e32 v50, 8, v51
	v_and_or_b32 v58, v51, 15, 0x4b000000
	v_ashrrev_i32_e32 v51, 16, v51
	v_and_or_b32 v57, v57, 15, 0x4b000000
	v_add_f32_e32 v61, 0xcb000008, v61
	v_and_or_b32 v50, v50, 15, 0x4b000000
	v_lshrrev_b32_e32 v111, 16, v106
	v_lshrrev_b32_e32 v110, 8, v51
	v_add_f32_e32 v57, 0xcb000008, v57
	v_and_or_b32 v49, v49, 15, 0x4b000000
	v_add_f32_e32 v58, 0xcb000008, v58
	v_and_or_b32 v106, 0xffff0000, v61, v109
	v_lshrrev_b32_e32 v61, 4, v51
	v_add_f32_e32 v50, 0xcb000008, v50
	v_and_or_b32 v110, v110, 15, 0x4b000000
	v_lshrrev_b32_e32 v57, 16, v57
	v_add_f32_e32 v49, 0xcb000008, v49
	v_lshrrev_b32_e32 v109, 12, v51
	v_and_or_b32 v61, v61, 15, 0x4b000000
	v_add_f32_e32 v112, 0xcb000008, v110
	v_and_or_b32 v110, 0xffff0000, v50, v57
	v_lshrrev_b32_e32 v50, 8, v52
	v_and_or_b32 v109, v109, 15, 0x4b000000
	v_and_or_b32 v51, v51, 15, 0x4b000000
	v_lshrrev_b32_e32 v49, 16, v49
	v_ashrrev_i32_e32 v57, 16, v52
	v_and_or_b32 v50, v50, 15, 0x4b000000
	v_add_f32_e32 v61, 0xcb000008, v61
	v_add_f32_e32 v109, 0xcb000008, v109
	;; [unrolled: 1-line block ×3, first 2 shown]
	v_and_or_b32 v108, 0xffff0000, v108, v111
	v_add_f32_e32 v50, 0xcb000008, v50
	v_lshrrev_b32_e32 v61, 16, v61
	v_lshrrev_b32_e32 v113, 16, v109
	v_and_or_b32 v109, 0xffff0000, v58, v49
	v_lshrrev_b32_e32 v49, 4, v52
	v_lshrrev_b32_e32 v58, 4, v57
	v_and_or_b32 v111, 0xffff0000, v51, v61
	v_lshrrev_b32_e32 v51, 12, v52
	v_and_or_b32 v112, 0xffff0000, v112, v113
	v_and_or_b32 v49, v49, 15, 0x4b000000
	;; [unrolled: 1-line block ×5, first 2 shown]
	v_lshrrev_b32_e32 v61, 12, v57
	v_lshrrev_b32_e32 v113, 8, v57
	v_and_or_b32 v57, v57, 15, 0x4b000000
	s_delay_alu instid0(VALU_DEP_4)
	v_dual_add_f32 v58, 0xcb000008, v58 :: v_dual_add_f32 v51, 0xcb000008, v51
	s_wait_dscnt 0x0
	v_and_or_b32 v114, v83, 15, 0x4b000000
	v_dual_add_f32 v49, 0xcb000008, v49 :: v_dual_add_f32 v52, 0xcb000008, v52
	v_and_or_b32 v61, v61, 15, 0x4b000000
	v_lshrrev_b32_e32 v51, 16, v51
	v_and_or_b32 v113, v113, 15, 0x4b000000
	v_add_f32_e32 v57, 0xcb000008, v57
	v_lshrrev_b32_e32 v58, 16, v58
	v_add_f32_e32 v114, 0xcb000008, v114
	v_lshrrev_b32_e32 v49, 16, v49
	v_and_or_b32 v50, 0xffff0000, v50, v51
	s_delay_alu instid0(VALU_DEP_4) | instskip(SKIP_1) | instid1(VALU_DEP_4)
	v_and_or_b32 v51, 0xffff0000, v57, v58
	v_lshrrev_b32_e32 v57, 4, v83
	v_and_or_b32 v49, 0xffff0000, v52, v49
	v_add_f32_e32 v52, 0xcb000008, v61
	v_add_f32_e32 v61, 0xcb000008, v113
	v_lshrrev_b32_e32 v58, 8, v83
	v_lshrrev_b32_e32 v113, 12, v83
	v_ashrrev_i32_e32 v83, 16, v83
	v_and_or_b32 v57, v57, 15, 0x4b000000
	v_lshrrev_b32_e32 v52, 16, v52
	v_and_or_b32 v58, v58, 15, 0x4b000000
	v_and_or_b32 v113, v113, 15, 0x4b000000
	v_lshrrev_b32_e32 v115, 4, v83
	v_add_f32_e32 v57, 0xcb000008, v57
	v_lshrrev_b32_e32 v116, 12, v83
	v_lshrrev_b32_e32 v118, 8, v83
	v_add_f32_e32 v113, 0xcb000008, v113
	v_and_or_b32 v115, v115, 15, 0x4b000000
	v_and_or_b32 v83, v83, 15, 0x4b000000
	v_add_f32_e32 v58, 0xcb000008, v58
	v_and_or_b32 v116, v116, 15, 0x4b000000
	v_lshrrev_b32_e32 v57, 16, v57
	v_add_f32_e32 v115, 0xcb000008, v115
	v_and_or_b32 v118, v118, 15, 0x4b000000
	v_lshrrev_b32_e32 v119, 16, v113
	v_dual_add_f32 v83, 0xcb000008, v83 :: v_dual_add_f32 v116, 0xcb000008, v116
	s_delay_alu instid0(VALU_DEP_4) | instskip(NEXT) | instid1(VALU_DEP_4)
	v_lshrrev_b32_e32 v115, 16, v115
	v_add_f32_e32 v118, 0xcb000008, v118
	v_and_or_b32 v52, 0xffff0000, v61, v52
	v_and_or_b32 v113, 0xffff0000, v114, v57
	;; [unrolled: 1-line block ×4, first 2 shown]
	v_lshrrev_b32_e32 v57, 4, v84
	v_lshrrev_b32_e32 v58, 8, v84
	;; [unrolled: 1-line block ×3, first 2 shown]
	v_and_or_b32 v83, v84, 15, 0x4b000000
	v_ashrrev_i32_e32 v84, 16, v84
	v_lshrrev_b32_e32 v116, 16, v116
	v_and_or_b32 v58, v58, 15, 0x4b000000
	v_and_or_b32 v61, v61, 15, 0x4b000000
	;; [unrolled: 1-line block ×3, first 2 shown]
	v_lshrrev_b32_e32 v119, 12, v84
	v_and_or_b32 v116, 0xffff0000, v118, v116
	v_lshrrev_b32_e32 v118, 4, v84
	v_dual_add_f32 v61, 0xcb000008, v61 :: v_dual_add_f32 v58, 0xcb000008, v58
	s_delay_alu instid0(VALU_DEP_4) | instskip(SKIP_1) | instid1(VALU_DEP_4)
	v_and_or_b32 v119, v119, 15, 0x4b000000
	v_lshrrev_b32_e32 v120, 8, v84
	v_and_or_b32 v118, v118, 15, 0x4b000000
	s_delay_alu instid0(VALU_DEP_4) | instskip(SKIP_4) | instid1(VALU_DEP_4)
	v_lshrrev_b32_e32 v61, 16, v61
	v_and_or_b32 v84, v84, 15, 0x4b000000
	v_add_f32_e32 v119, 0xcb000008, v119
	v_and_or_b32 v120, v120, 15, 0x4b000000
	v_add_f32_e32 v118, 0xcb000008, v118
	v_add_f32_e32 v84, 0xcb000008, v84
	s_delay_alu instid0(VALU_DEP_4)
	v_lshrrev_b32_e32 v123, 16, v119
	v_and_or_b32 v119, 0xffff0000, v58, v61
	v_lshrrev_b32_e32 v58, 8, v85
	v_lshrrev_b32_e32 v121, 16, v118
	v_add_f32_e32 v122, 0xcb000008, v120
	v_lshrrev_b32_e32 v61, 12, v85
	s_delay_alu instid0(VALU_DEP_4) | instskip(SKIP_3) | instid1(VALU_DEP_4)
	v_and_or_b32 v58, v58, 15, 0x4b000000
	v_add_f32_e32 v57, 0xcb000008, v57
	v_and_or_b32 v120, 0xffff0000, v84, v121
	v_and_or_b32 v84, v85, 15, 0x4b000000
	v_dual_add_f32 v83, 0xcb000008, v83 :: v_dual_add_f32 v58, 0xcb000008, v58
	s_delay_alu instid0(VALU_DEP_4) | instskip(SKIP_1) | instid1(VALU_DEP_4)
	v_lshrrev_b32_e32 v57, 16, v57
	v_and_or_b32 v121, 0xffff0000, v122, v123
	v_add_f32_e32 v84, 0xcb000008, v84
	v_and_or_b32 v61, v61, 15, 0x4b000000
	s_delay_alu instid0(VALU_DEP_4) | instskip(SKIP_2) | instid1(VALU_DEP_4)
	v_and_or_b32 v118, 0xffff0000, v83, v57
	v_ashrrev_i32_e32 v83, 16, v85
	v_lshrrev_b32_e32 v57, 4, v85
	v_add_f32_e32 v61, 0xcb000008, v61
	s_delay_alu instid0(VALU_DEP_3) | instskip(NEXT) | instid1(VALU_DEP_3)
	v_lshrrev_b32_e32 v85, 4, v83
	v_and_or_b32 v57, v57, 15, 0x4b000000
	v_lshrrev_b32_e32 v123, 8, v83
	v_lshrrev_b32_e32 v122, 12, v83
	v_and_or_b32 v83, v83, 15, 0x4b000000
	v_and_or_b32 v85, v85, 15, 0x4b000000
	v_lshrrev_b32_e32 v61, 16, v61
	v_and_or_b32 v123, v123, 15, 0x4b000000
	v_add_f32_e32 v57, 0xcb000008, v57
	v_and_or_b32 v122, v122, 15, 0x4b000000
	v_dual_add_f32 v85, 0xcb000008, v85 :: v_dual_add_f32 v124, 0xcb000008, v83
	s_delay_alu instid0(VALU_DEP_3) | instskip(NEXT) | instid1(VALU_DEP_2)
	v_lshrrev_b32_e32 v57, 16, v57
	v_lshrrev_b32_e32 v85, 16, v85
	s_delay_alu instid0(VALU_DEP_2)
	v_and_or_b32 v83, 0xffff0000, v84, v57
	v_add_f32_e32 v57, 0xcb000008, v122
	v_and_or_b32 v84, 0xffff0000, v58, v61
	v_add_f32_e32 v58, 0xcb000008, v123
	v_and_or_b32 v85, 0xffff0000, v124, v85
	v_lshrrev_b32_e32 v61, 4, v86
	v_lshrrev_b32_e32 v122, 8, v86
	;; [unrolled: 1-line block ×3, first 2 shown]
	v_and_or_b32 v124, v86, 15, 0x4b000000
	v_ashrrev_i32_e32 v86, 16, v86
	v_and_or_b32 v61, v61, 15, 0x4b000000
	v_and_or_b32 v122, v122, 15, 0x4b000000
	v_and_or_b32 v123, v123, 15, 0x4b000000
	v_add_f32_e32 v124, 0xcb000008, v124
	v_lshrrev_b32_e32 v125, 4, v86
	v_lshrrev_b32_e32 v126, 12, v86
	s_delay_alu instid0(VALU_DEP_4) | instskip(SKIP_1) | instid1(VALU_DEP_4)
	v_dual_add_f32 v127, 0xcb000008, v122 :: v_dual_add_f32 v122, 0xcb000008, v123
	v_lshrrev_b32_e32 v123, 8, v86
	v_and_or_b32 v125, v125, 15, 0x4b000000
	s_delay_alu instid0(VALU_DEP_4) | instskip(SKIP_3) | instid1(VALU_DEP_4)
	v_and_or_b32 v126, v126, 15, 0x4b000000
	v_add_f32_e32 v61, 0xcb000008, v61
	v_and_or_b32 v86, v86, 15, 0x4b000000
	v_and_or_b32 v123, v123, 15, 0x4b000000
	v_dual_add_f32 v125, 0xcb000008, v125 :: v_dual_add_f32 v126, 0xcb000008, v126
	s_delay_alu instid0(VALU_DEP_4) | instskip(SKIP_1) | instid1(VALU_DEP_4)
	v_lshrrev_b32_e32 v61, 16, v61
	v_lshrrev_b32_e32 v128, 16, v122
	v_dual_add_f32 v129, 0xcb000008, v86 :: v_dual_add_f32 v130, 0xcb000008, v123
	v_lshrrev_b32_e32 v57, 16, v57
	v_lshrrev_b32_e32 v125, 16, v125
	;; [unrolled: 1-line block ×3, first 2 shown]
	v_and_or_b32 v122, 0xffff0000, v124, v61
	v_and_or_b32 v123, 0xffff0000, v127, v128
	v_and_or_b32 v86, 0xffff0000, v58, v57
	v_and_or_b32 v124, 0xffff0000, v129, v125
	v_and_or_b32 v125, 0xffff0000, v130, v126
	; sched_barrier mask(0x00000000)
	s_barrier_signal -1
	s_barrier_wait -1
	; sched_barrier mask(0x00000000)
	v_wmma_f32_16x16x16_bf16 v[1:8], v[87:90], v[53:56], v[1:8]
	s_delay_alu instid0(VALU_DEP_1) | instskip(NEXT) | instid1(VALU_DEP_1)
	v_wmma_f32_16x16x16_bf16 v[1:8], v[105:108], v[63:66], v[1:8]
	v_wmma_f32_16x16x16_bf16 v[1:8], v[109:112], v[67:70], v[1:8]
	s_delay_alu instid0(VALU_DEP_1)
	v_wmma_f32_16x16x16_bf16 v[1:8], v[49:52], v[71:74], v[1:8]
	; sched_barrier mask(0x00000000)
	s_setprio 1
	; sched_barrier mask(0x00000000)
	; sched_barrier mask(0x00000000)
	s_wait_dscnt 0x0
	s_barrier_signal -1
	s_barrier_wait -1
	; sched_barrier mask(0x00000000)
	v_wmma_f32_16x16x16_bf16 v[1:8], v[113:116], v[75:78], v[1:8]
	s_delay_alu instid0(VALU_DEP_1) | instskip(NEXT) | instid1(VALU_DEP_1)
	v_wmma_f32_16x16x16_bf16 v[1:8], v[118:121], v[79:82], v[1:8]
	v_wmma_f32_16x16x16_bf16 v[1:8], v[83:86], v[45:48], v[1:8]
	s_delay_alu instid0(VALU_DEP_1) | instskip(SKIP_2) | instid1(VALU_DEP_1)
	v_wmma_f32_16x16x16_bf16 v[1:8], v[122:125], v[41:44], v[1:8]
	; sched_barrier mask(0x00000000)
	s_setprio 0
	; sched_barrier mask(0x00000000)
	v_lshl_add_u32 v42, v117, 1, v62
	v_lshl_add_u32 v41, v60, 1, v42
	s_wait_loadcnt 0x7
	ds_store_b128 v42, v[37:40]
	s_wait_loadcnt 0x6
	ds_store_b128 v41, v[33:36] offset:256
	s_wait_loadcnt 0x5
	ds_store_b128 v59, v[29:32] offset:4096
	;; [unrolled: 2-line block ×3, first 2 shown]
	s_wait_dscnt 0x0
	s_barrier_signal -1
	s_barrier_wait -1
	ds_load_b128 v[33:36], v102 offset:4096
	ds_load_b128 v[37:40], v94
	ds_load_b128 v[42:45], v95
	;; [unrolled: 1-line block ×8, first 2 shown]
	ds_load_b128 v[64:67], v93 offset:4096
	s_wait_dscnt 0x9
	v_and_or_b32 v58, v33, 15, 0x4b000000
	v_lshrrev_b32_e32 v68, 4, v33
	v_lshrrev_b32_e32 v69, 8, v33
	;; [unrolled: 1-line block ×3, first 2 shown]
	v_ashrrev_i32_e32 v33, 16, v33
	v_lshrrev_b32_e32 v72, 4, v34
	v_and_or_b32 v68, v68, 15, 0x4b000000
	v_and_or_b32 v69, v69, 15, 0x4b000000
	;; [unrolled: 1-line block ×3, first 2 shown]
	v_lshrrev_b32_e32 v76, 4, v33
	v_and_or_b32 v75, v33, 15, 0x4b000000
	v_lshrrev_b32_e32 v77, 8, v33
	v_lshrrev_b32_e32 v33, 12, v33
	v_add_f32_e32 v68, 0xcb000008, v68
	v_and_or_b32 v76, v76, 15, 0x4b000000
	v_and_or_b32 v71, v34, 15, 0x4b000000
	;; [unrolled: 1-line block ×4, first 2 shown]
	v_add_f32_e32 v70, 0xcb000008, v70
	v_add_f32_e32 v76, 0xcb000008, v76
	v_lshrrev_b32_e32 v73, 8, v34
	v_lshrrev_b32_e32 v74, 12, v34
	v_ashrrev_i32_e32 v34, 16, v34
	v_dual_add_f32 v58, 0xcb000008, v58 :: v_dual_add_f32 v69, 0xcb000008, v69
	v_and_or_b32 v72, v72, 15, 0x4b000000
	v_add_f32_e32 v75, 0xcb000008, v75
	v_lshrrev_b32_e32 v68, 16, v68
	v_add_f32_e32 v33, 0xcb000008, v33
	v_lshrrev_b32_e32 v70, 16, v70
	;; [unrolled: 2-line block ×3, first 2 shown]
	v_and_or_b32 v68, 0xffff0000, v58, v68
	v_and_or_b32 v58, v74, 15, 0x4b000000
	;; [unrolled: 1-line block ×3, first 2 shown]
	v_dual_add_f32 v74, 0xcb000008, v71 :: v_dual_add_f32 v71, 0xcb000008, v72
	v_and_or_b32 v70, 0xffff0000, v75, v76
	v_lshrrev_b32_e32 v72, 4, v34
	v_lshrrev_b32_e32 v75, 12, v34
	;; [unrolled: 1-line block ×3, first 2 shown]
	v_and_or_b32 v73, v73, 15, 0x4b000000
	v_lshrrev_b32_e32 v33, 16, v33
	v_and_or_b32 v72, v72, 15, 0x4b000000
	v_and_or_b32 v75, v75, 15, 0x4b000000
	v_lshrrev_b32_e32 v78, 16, v71
	v_and_or_b32 v71, v76, 15, 0x4b000000
	v_dual_add_f32 v73, 0xcb000008, v73 :: v_dual_add_f32 v58, 0xcb000008, v58
	v_and_or_b32 v34, v34, 15, 0x4b000000
	v_dual_add_f32 v72, 0xcb000008, v72 :: v_dual_add_f32 v75, 0xcb000008, v75
	s_delay_alu instid0(VALU_DEP_4)
	v_add_f32_e32 v76, 0xcb000008, v71
	v_and_or_b32 v71, 0xffff0000, v77, v33
	v_lshrrev_b32_e32 v33, 4, v35
	v_lshrrev_b32_e32 v58, 16, v58
	;; [unrolled: 1-line block ×4, first 2 shown]
	v_and_or_b32 v72, 0xffff0000, v74, v78
	v_and_or_b32 v33, v33, 15, 0x4b000000
	v_add_f32_e32 v34, 0xcb000008, v34
	v_and_or_b32 v73, 0xffff0000, v73, v58
	v_and_or_b32 v75, 0xffff0000, v76, v75
	v_lshrrev_b32_e32 v58, 12, v35
	v_and_or_b32 v76, v35, 15, 0x4b000000
	v_add_f32_e32 v33, 0xcb000008, v33
	v_and_or_b32 v74, 0xffff0000, v34, v79
	v_lshrrev_b32_e32 v34, 8, v35
	v_ashrrev_i32_e32 v35, 16, v35
	v_and_or_b32 v58, v58, 15, 0x4b000000
	v_lshrrev_b32_e32 v33, 16, v33
	s_wait_dscnt 0x0
	v_and_or_b32 v83, v64, 15, 0x4b000000
	v_and_or_b32 v34, v34, 15, 0x4b000000
	v_lshrrev_b32_e32 v77, 4, v35
	v_lshrrev_b32_e32 v78, 12, v35
	;; [unrolled: 1-line block ×3, first 2 shown]
	v_and_or_b32 v35, v35, 15, 0x4b000000
	v_add_f32_e32 v76, 0xcb000008, v76
	v_and_or_b32 v77, v77, 15, 0x4b000000
	v_and_or_b32 v78, v78, 15, 0x4b000000
	;; [unrolled: 1-line block ×3, first 2 shown]
	v_add_f32_e32 v35, 0xcb000008, v35
	v_and_or_b32 v76, 0xffff0000, v76, v33
	v_lshrrev_b32_e32 v33, 4, v36
	s_delay_alu instid0(VALU_DEP_4) | instskip(SKIP_1) | instid1(VALU_DEP_3)
	v_dual_add_f32 v34, 0xcb000008, v34 :: v_dual_add_f32 v79, 0xcb000008, v79
	v_dual_add_f32 v77, 0xcb000008, v77 :: v_dual_add_f32 v78, 0xcb000008, v78
	v_and_or_b32 v33, v33, 15, 0x4b000000
	v_dual_add_f32 v58, 0xcb000008, v58 :: v_dual_add_f32 v83, 0xcb000008, v83
	s_delay_alu instid0(VALU_DEP_3) | instskip(NEXT) | instid1(VALU_DEP_4)
	v_lshrrev_b32_e32 v80, 16, v77
	v_lshrrev_b32_e32 v81, 16, v78
	s_delay_alu instid0(VALU_DEP_4) | instskip(NEXT) | instid1(VALU_DEP_4)
	v_add_f32_e32 v33, 0xcb000008, v33
	v_lshrrev_b32_e32 v58, 16, v58
	s_delay_alu instid0(VALU_DEP_4) | instskip(SKIP_2) | instid1(VALU_DEP_4)
	v_and_or_b32 v78, 0xffff0000, v35, v80
	v_lshrrev_b32_e32 v35, 12, v36
	v_and_or_b32 v79, 0xffff0000, v79, v81
	v_and_or_b32 v77, 0xffff0000, v34, v58
	v_ashrrev_i32_e32 v58, 16, v36
	v_lshrrev_b32_e32 v34, 8, v36
	v_and_or_b32 v35, v35, 15, 0x4b000000
	v_and_or_b32 v36, v36, 15, 0x4b000000
	v_lshrrev_b32_e32 v33, 16, v33
	v_lshrrev_b32_e32 v80, 4, v58
	v_and_or_b32 v34, v34, 15, 0x4b000000
	v_add_f32_e32 v35, 0xcb000008, v35
	v_lshrrev_b32_e32 v81, 12, v58
	v_lshrrev_b32_e32 v82, 8, v58
	v_and_or_b32 v80, v80, 15, 0x4b000000
	v_and_or_b32 v58, v58, 15, 0x4b000000
	v_add_f32_e32 v34, 0xcb000008, v34
	v_lshrrev_b32_e32 v35, 16, v35
	v_and_or_b32 v81, v81, 15, 0x4b000000
	v_add_f32_e32 v80, 0xcb000008, v80
	v_and_or_b32 v82, v82, 15, 0x4b000000
	v_add_f32_e32 v36, 0xcb000008, v36
	v_add_f32_e32 v58, 0xcb000008, v58
	v_and_or_b32 v34, 0xffff0000, v34, v35
	v_lshrrev_b32_e32 v80, 16, v80
	s_delay_alu instid0(VALU_DEP_4) | instskip(SKIP_1) | instid1(VALU_DEP_3)
	v_and_or_b32 v33, 0xffff0000, v36, v33
	v_dual_add_f32 v36, 0xcb000008, v81 :: v_dual_add_f32 v81, 0xcb000008, v82
	v_and_or_b32 v35, 0xffff0000, v58, v80
	v_lshrrev_b32_e32 v58, 4, v64
	v_lshrrev_b32_e32 v80, 8, v64
	v_lshrrev_b32_e32 v82, 12, v64
	v_ashrrev_i32_e32 v64, 16, v64
	v_lshrrev_b32_e32 v36, 16, v36
	v_and_or_b32 v58, v58, 15, 0x4b000000
	v_and_or_b32 v80, v80, 15, 0x4b000000
	;; [unrolled: 1-line block ×3, first 2 shown]
	v_lshrrev_b32_e32 v84, 4, v64
	v_lshrrev_b32_e32 v85, 12, v64
	v_add_f32_e32 v58, 0xcb000008, v58
	v_add_f32_e32 v86, 0xcb000008, v80
	;; [unrolled: 1-line block ×3, first 2 shown]
	v_lshrrev_b32_e32 v82, 8, v64
	v_and_or_b32 v84, v84, 15, 0x4b000000
	v_and_or_b32 v85, v85, 15, 0x4b000000
	;; [unrolled: 1-line block ×3, first 2 shown]
	v_lshrrev_b32_e32 v58, 16, v58
	v_and_or_b32 v82, v82, 15, 0x4b000000
	s_delay_alu instid0(VALU_DEP_4) | instskip(NEXT) | instid1(VALU_DEP_4)
	v_dual_add_f32 v84, 0xcb000008, v84 :: v_dual_add_f32 v85, 0xcb000008, v85
	v_add_f32_e32 v64, 0xcb000008, v64
	v_lshrrev_b32_e32 v87, 16, v80
	s_delay_alu instid0(VALU_DEP_4) | instskip(NEXT) | instid1(VALU_DEP_4)
	v_add_f32_e32 v88, 0xcb000008, v82
	v_lshrrev_b32_e32 v82, 16, v84
	v_lshrrev_b32_e32 v84, 16, v85
	v_and_or_b32 v80, 0xffff0000, v83, v58
	v_lshrrev_b32_e32 v58, 4, v65
	v_and_or_b32 v85, v65, 15, 0x4b000000
	v_and_or_b32 v82, 0xffff0000, v64, v82
	;; [unrolled: 1-line block ×3, first 2 shown]
	v_lshrrev_b32_e32 v64, 8, v65
	v_lshrrev_b32_e32 v84, 12, v65
	v_ashrrev_i32_e32 v65, 16, v65
	v_and_or_b32 v36, 0xffff0000, v81, v36
	v_and_or_b32 v81, 0xffff0000, v86, v87
	;; [unrolled: 1-line block ×4, first 2 shown]
	v_lshrrev_b32_e32 v86, 4, v65
	v_lshrrev_b32_e32 v87, 12, v65
	;; [unrolled: 1-line block ×3, first 2 shown]
	v_and_or_b32 v64, v64, 15, 0x4b000000
	v_add_f32_e32 v58, 0xcb000008, v58
	v_and_or_b32 v86, v86, 15, 0x4b000000
	v_and_or_b32 v87, v87, 15, 0x4b000000
	v_add_f32_e32 v84, 0xcb000008, v84
	v_and_or_b32 v65, v65, 15, 0x4b000000
	v_and_or_b32 v88, v88, 15, 0x4b000000
	s_delay_alu instid0(VALU_DEP_4)
	v_dual_add_f32 v86, 0xcb000008, v86 :: v_dual_add_f32 v87, 0xcb000008, v87
	v_dual_add_f32 v85, 0xcb000008, v85 :: v_dual_add_f32 v64, 0xcb000008, v64
	v_lshrrev_b32_e32 v58, 16, v58
	v_lshrrev_b32_e32 v89, 16, v84
	v_add_f32_e32 v65, 0xcb000008, v65
	v_lshrrev_b32_e32 v86, 16, v86
	v_add_f32_e32 v88, 0xcb000008, v88
	v_lshrrev_b32_e32 v87, 16, v87
	v_and_or_b32 v84, 0xffff0000, v85, v58
	v_and_or_b32 v85, 0xffff0000, v64, v89
	;; [unrolled: 1-line block ×3, first 2 shown]
	v_lshrrev_b32_e32 v64, 8, v66
	v_and_or_b32 v87, 0xffff0000, v88, v87
	v_lshrrev_b32_e32 v65, 12, v66
	v_ashrrev_i32_e32 v88, 16, v66
	v_lshrrev_b32_e32 v58, 4, v66
	v_and_or_b32 v64, v64, 15, 0x4b000000
	v_and_or_b32 v66, v66, 15, 0x4b000000
	;; [unrolled: 1-line block ×3, first 2 shown]
	v_lshrrev_b32_e32 v89, 4, v88
	v_and_or_b32 v58, v58, 15, 0x4b000000
	v_add_f32_e32 v90, 0xcb000008, v64
	v_lshrrev_b32_e32 v105, 8, v88
	v_add_f32_e32 v64, 0xcb000008, v65
	v_and_or_b32 v65, v89, 15, 0x4b000000
	v_add_f32_e32 v58, 0xcb000008, v58
	v_lshrrev_b32_e32 v89, 12, v88
	v_and_or_b32 v88, v88, 15, 0x4b000000
	s_delay_alu instid0(VALU_DEP_4) | instskip(NEXT) | instid1(VALU_DEP_4)
	v_dual_add_f32 v66, 0xcb000008, v66 :: v_dual_add_f32 v65, 0xcb000008, v65
	v_lshrrev_b32_e32 v58, 16, v58
	v_lshrrev_b32_e32 v106, 16, v64
	v_and_or_b32 v89, v89, 15, 0x4b000000
	v_and_or_b32 v105, v105, 15, 0x4b000000
	v_add_f32_e32 v88, 0xcb000008, v88
	v_lshrrev_b32_e32 v107, 16, v65
	v_and_or_b32 v64, 0xffff0000, v66, v58
	v_add_f32_e32 v58, 0xcb000008, v89
	v_and_or_b32 v65, 0xffff0000, v90, v106
	v_add_f32_e32 v89, 0xcb000008, v105
	v_and_or_b32 v66, 0xffff0000, v88, v107
	v_lshrrev_b32_e32 v88, 4, v67
	v_lshrrev_b32_e32 v90, 8, v67
	;; [unrolled: 1-line block ×3, first 2 shown]
	v_and_or_b32 v106, v67, 15, 0x4b000000
	v_ashrrev_i32_e32 v67, 16, v67
	v_and_or_b32 v88, v88, 15, 0x4b000000
	v_and_or_b32 v90, v90, 15, 0x4b000000
	;; [unrolled: 1-line block ×3, first 2 shown]
	v_lshrrev_b32_e32 v58, 16, v58
	v_lshrrev_b32_e32 v107, 4, v67
	;; [unrolled: 1-line block ×4, first 2 shown]
	v_dual_add_f32 v88, 0xcb000008, v88 :: v_dual_add_f32 v105, 0xcb000008, v105
	s_delay_alu instid0(VALU_DEP_4) | instskip(NEXT) | instid1(VALU_DEP_4)
	v_and_or_b32 v107, v107, 15, 0x4b000000
	v_and_or_b32 v108, v108, 15, 0x4b000000
	;; [unrolled: 1-line block ×4, first 2 shown]
	s_delay_alu instid0(VALU_DEP_4) | instskip(NEXT) | instid1(VALU_DEP_4)
	v_dual_add_f32 v106, 0xcb000008, v106 :: v_dual_add_f32 v107, 0xcb000008, v107
	v_add_f32_e32 v108, 0xcb000008, v108
	v_add_f32_e32 v90, 0xcb000008, v90
	v_lshrrev_b32_e32 v88, 16, v88
	v_lshrrev_b32_e32 v110, 16, v105
	v_add_f32_e32 v111, 0xcb000008, v67
	v_add_f32_e32 v109, 0xcb000008, v109
	v_lshrrev_b32_e32 v107, 16, v107
	v_lshrrev_b32_e32 v108, 16, v108
	v_and_or_b32 v67, 0xffff0000, v89, v58
	v_and_or_b32 v105, 0xffff0000, v106, v88
	;; [unrolled: 1-line block ×5, first 2 shown]
	; sched_barrier mask(0x00000000)
	s_barrier_signal -1
	s_barrier_wait -1
	; sched_barrier mask(0x00000000)
	v_wmma_f32_16x16x16_bf16 v[1:8], v[68:71], v[37:40], v[1:8]
	s_delay_alu instid0(VALU_DEP_1) | instskip(NEXT) | instid1(VALU_DEP_1)
	v_wmma_f32_16x16x16_bf16 v[1:8], v[72:75], v[42:45], v[1:8]
	v_wmma_f32_16x16x16_bf16 v[1:8], v[76:79], v[46:49], v[1:8]
	s_delay_alu instid0(VALU_DEP_1)
	v_wmma_f32_16x16x16_bf16 v[1:8], v[33:36], v[50:53], v[1:8]
	; sched_barrier mask(0x00000000)
	s_setprio 1
	; sched_barrier mask(0x00000000)
	; sched_barrier mask(0x00000000)
	s_wait_dscnt 0x0
	s_barrier_signal -1
	s_barrier_wait -1
	; sched_barrier mask(0x00000000)
	v_wmma_f32_16x16x16_bf16 v[1:8], v[80:83], v[54:57], v[1:8]
	s_delay_alu instid0(VALU_DEP_1) | instskip(NEXT) | instid1(VALU_DEP_1)
	v_wmma_f32_16x16x16_bf16 v[1:8], v[84:87], v[60:63], v[1:8]
	v_wmma_f32_16x16x16_bf16 v[1:8], v[64:67], v[29:32], v[1:8]
	s_delay_alu instid0(VALU_DEP_1)
	v_wmma_f32_16x16x16_bf16 v[1:8], v[105:108], v[25:28], v[1:8]
	; sched_barrier mask(0x00000000)
	s_setprio 0
	; sched_barrier mask(0x00000000)
	v_lshl_add_u32 v25, v103, 1, v41
	s_wait_loadcnt 0x3
	ds_store_b128 v25, v[9:12]
	s_wait_loadcnt 0x2
	ds_store_b128 v41, v[13:16] offset:256
	s_wait_loadcnt 0x1
	ds_store_b128 v59, v[21:24] offset:4096
	;; [unrolled: 2-line block ×3, first 2 shown]
	s_wait_dscnt 0x0
	s_barrier_signal -1
	s_barrier_wait -1
	ds_load_b128 v[17:20], v102 offset:4096
	ds_load_b128 v[21:24], v94
	ds_load_b128 v[25:28], v95
	ds_load_b128 v[29:32], v96
	ds_load_b128 v[33:36], v97
	ds_load_b128 v[37:40], v98
	ds_load_b128 v[41:44], v99
	ds_load_b128 v[13:16], v100
	ds_load_b128 v[9:12], v101
	ds_load_b128 v[45:48], v93 offset:4096
	s_wait_dscnt 0x9
	v_and_or_b32 v49, v17, 15, 0x4b000000
	v_lshrrev_b32_e32 v50, 4, v17
	v_lshrrev_b32_e32 v51, 8, v17
	;; [unrolled: 1-line block ×3, first 2 shown]
	v_ashrrev_i32_e32 v17, 16, v17
	v_lshrrev_b32_e32 v53, 4, v18
	v_and_or_b32 v50, v50, 15, 0x4b000000
	v_and_or_b32 v51, v51, 15, 0x4b000000
	;; [unrolled: 1-line block ×3, first 2 shown]
	v_lshrrev_b32_e32 v56, 4, v17
	s_delay_alu instid0(VALU_DEP_4) | instskip(NEXT) | instid1(VALU_DEP_3)
	v_dual_add_f32 v49, 0xcb000008, v49 :: v_dual_add_f32 v50, 0xcb000008, v50
	v_dual_add_f32 v51, 0xcb000008, v51 :: v_dual_add_f32 v52, 0xcb000008, v52
	s_delay_alu instid0(VALU_DEP_3) | instskip(SKIP_1) | instid1(VALU_DEP_4)
	v_and_or_b32 v56, v56, 15, 0x4b000000
	v_and_or_b32 v57, v17, 15, 0x4b000000
	v_lshrrev_b32_e32 v50, 16, v50
	v_lshrrev_b32_e32 v54, 8, v18
	;; [unrolled: 1-line block ×3, first 2 shown]
	s_delay_alu instid0(VALU_DEP_4) | instskip(SKIP_3) | instid1(VALU_DEP_4)
	v_dual_add_f32 v56, 0xcb000008, v56 :: v_dual_add_f32 v57, 0xcb000008, v57
	v_lshrrev_b32_e32 v55, 12, v18
	v_lshrrev_b32_e32 v58, 8, v17
	;; [unrolled: 1-line block ×4, first 2 shown]
	v_and_or_b32 v49, 0xffff0000, v49, v50
	v_and_or_b32 v50, 0xffff0000, v51, v52
	;; [unrolled: 1-line block ×4, first 2 shown]
	v_ashrrev_i32_e32 v18, 16, v18
	v_and_or_b32 v17, v17, 15, 0x4b000000
	v_and_or_b32 v51, 0xffff0000, v57, v56
	;; [unrolled: 1-line block ×3, first 2 shown]
	v_add_f32_e32 v56, 0xcb000008, v52
	v_add_f32_e32 v52, 0xcb000008, v53
	v_lshrrev_b32_e32 v53, 4, v18
	v_lshrrev_b32_e32 v57, 12, v18
	v_and_or_b32 v58, v58, 15, 0x4b000000
	v_add_f32_e32 v17, 0xcb000008, v17
	v_and_or_b32 v54, v54, 15, 0x4b000000
	v_lshrrev_b32_e32 v59, 8, v18
	v_and_or_b32 v53, v53, 15, 0x4b000000
	v_and_or_b32 v57, v57, 15, 0x4b000000
	v_add_f32_e32 v58, 0xcb000008, v58
	v_lshrrev_b32_e32 v17, 16, v17
	s_delay_alu instid0(VALU_DEP_4)
	v_dual_add_f32 v54, 0xcb000008, v54 :: v_dual_add_f32 v53, 0xcb000008, v53
	v_add_f32_e32 v55, 0xcb000008, v55
	v_lshrrev_b32_e32 v60, 16, v52
	v_and_or_b32 v18, v18, 15, 0x4b000000
	v_and_or_b32 v52, v59, 15, 0x4b000000
	v_add_f32_e32 v57, 0xcb000008, v57
	v_lshrrev_b32_e32 v55, 16, v55
	v_lshrrev_b32_e32 v61, 16, v53
	s_delay_alu instid0(VALU_DEP_4) | instskip(NEXT) | instid1(VALU_DEP_4)
	v_dual_add_f32 v18, 0xcb000008, v18 :: v_dual_add_f32 v59, 0xcb000008, v52
	v_lshrrev_b32_e32 v57, 16, v57
	v_and_or_b32 v52, 0xffff0000, v58, v17
	v_and_or_b32 v58, v19, 15, 0x4b000000
	;; [unrolled: 1-line block ×5, first 2 shown]
	v_lshrrev_b32_e32 v17, 4, v19
	v_lshrrev_b32_e32 v18, 8, v19
	v_add_f32_e32 v58, 0xcb000008, v58
	v_and_or_b32 v56, 0xffff0000, v59, v57
	v_lshrrev_b32_e32 v57, 12, v19
	v_ashrrev_i32_e32 v19, 16, v19
	v_and_or_b32 v17, v17, 15, 0x4b000000
	v_and_or_b32 v18, v18, 15, 0x4b000000
	s_wait_dscnt 0x0
	v_and_or_b32 v65, v45, 15, 0x4b000000
	v_and_or_b32 v57, v57, 15, 0x4b000000
	v_lshrrev_b32_e32 v60, 12, v19
	v_dual_add_f32 v17, 0xcb000008, v17 :: v_dual_add_f32 v18, 0xcb000008, v18
	v_lshrrev_b32_e32 v59, 4, v19
	v_lshrrev_b32_e32 v61, 8, v19
	s_delay_alu instid0(VALU_DEP_4)
	v_and_or_b32 v60, v60, 15, 0x4b000000
	v_add_f32_e32 v57, 0xcb000008, v57
	v_lshrrev_b32_e32 v17, 16, v17
	v_and_or_b32 v59, v59, 15, 0x4b000000
	v_and_or_b32 v61, v61, 15, 0x4b000000
	v_add_f32_e32 v60, 0xcb000008, v60
	v_lshrrev_b32_e32 v62, 16, v57
	v_and_or_b32 v57, 0xffff0000, v58, v17
	;; [unrolled: 4-line block ×3, first 2 shown]
	v_lshrrev_b32_e32 v18, 8, v20
	v_add_f32_e32 v19, 0xcb000008, v19
	v_lshrrev_b32_e32 v59, 16, v59
	v_lshrrev_b32_e32 v17, 4, v20
	v_and_or_b32 v74, v48, 15, 0x4b000000
	v_and_or_b32 v18, v18, 15, 0x4b000000
	v_add_f32_e32 v61, 0xcb000008, v61
	v_and_or_b32 v59, 0xffff0000, v19, v59
	v_lshrrev_b32_e32 v19, 12, v20
	v_and_or_b32 v17, v17, 15, 0x4b000000
	v_add_f32_e32 v18, 0xcb000008, v18
	v_and_or_b32 v60, 0xffff0000, v61, v60
	v_ashrrev_i32_e32 v61, 16, v20
	v_and_or_b32 v19, v19, 15, 0x4b000000
	v_and_or_b32 v20, v20, 15, 0x4b000000
	v_add_f32_e32 v74, 0xcb000008, v74
	s_delay_alu instid0(VALU_DEP_4) | instskip(NEXT) | instid1(VALU_DEP_4)
	v_lshrrev_b32_e32 v62, 4, v61
	v_add_f32_e32 v19, 0xcb000008, v19
	v_lshrrev_b32_e32 v63, 12, v61
	v_lshrrev_b32_e32 v64, 8, v61
	v_and_or_b32 v61, v61, 15, 0x4b000000
	v_and_or_b32 v62, v62, 15, 0x4b000000
	v_dual_add_f32 v17, 0xcb000008, v17 :: v_dual_add_f32 v20, 0xcb000008, v20
	v_lshrrev_b32_e32 v19, 16, v19
	v_and_or_b32 v63, v63, 15, 0x4b000000
	s_delay_alu instid0(VALU_DEP_4) | instskip(NEXT) | instid1(VALU_DEP_4)
	v_add_f32_e32 v62, 0xcb000008, v62
	v_lshrrev_b32_e32 v17, 16, v17
	v_and_or_b32 v64, v64, 15, 0x4b000000
	v_add_f32_e32 v61, 0xcb000008, v61
	v_and_or_b32 v18, 0xffff0000, v18, v19
	v_lshrrev_b32_e32 v62, 16, v62
	v_and_or_b32 v17, 0xffff0000, v20, v17
	v_dual_add_f32 v20, 0xcb000008, v63 :: v_dual_add_f32 v63, 0xcb000008, v64
	v_lshrrev_b32_e32 v64, 12, v45
	s_delay_alu instid0(VALU_DEP_4)
	v_and_or_b32 v19, 0xffff0000, v61, v62
	v_lshrrev_b32_e32 v61, 4, v45
	v_lshrrev_b32_e32 v62, 8, v45
	v_ashrrev_i32_e32 v45, 16, v45
	v_and_or_b32 v64, v64, 15, 0x4b000000
	v_add_f32_e32 v65, 0xcb000008, v65
	v_and_or_b32 v61, v61, 15, 0x4b000000
	v_and_or_b32 v62, v62, 15, 0x4b000000
	v_lshrrev_b32_e32 v68, 8, v45
	v_lshrrev_b32_e32 v66, 4, v45
	;; [unrolled: 1-line block ×3, first 2 shown]
	v_add_f32_e32 v64, 0xcb000008, v64
	v_and_or_b32 v45, v45, 15, 0x4b000000
	v_and_or_b32 v68, v68, 15, 0x4b000000
	v_add_f32_e32 v61, 0xcb000008, v61
	v_and_or_b32 v66, v66, 15, 0x4b000000
	v_and_or_b32 v67, v67, 15, 0x4b000000
	v_lshrrev_b32_e32 v20, 16, v20
	v_add_f32_e32 v68, 0xcb000008, v68
	v_lshrrev_b32_e32 v61, 16, v61
	v_add_f32_e32 v66, 0xcb000008, v66
	v_add_f32_e32 v62, 0xcb000008, v62
	v_lshrrev_b32_e32 v64, 16, v64
	v_add_f32_e32 v45, 0xcb000008, v45
	v_and_or_b32 v61, 0xffff0000, v65, v61
	v_lshrrev_b32_e32 v65, 8, v46
	v_lshrrev_b32_e32 v66, 16, v66
	v_and_or_b32 v20, 0xffff0000, v63, v20
	v_and_or_b32 v62, 0xffff0000, v62, v64
	s_delay_alu instid0(VALU_DEP_4)
	v_and_or_b32 v65, v65, 15, 0x4b000000
	v_add_f32_e32 v67, 0xcb000008, v67
	v_and_or_b32 v63, 0xffff0000, v45, v66
	v_lshrrev_b32_e32 v45, 4, v46
	v_lshrrev_b32_e32 v66, 12, v46
	v_add_f32_e32 v70, 0xcb000008, v65
	v_lshrrev_b32_e32 v67, 16, v67
	s_delay_alu instid0(VALU_DEP_4) | instskip(NEXT) | instid1(VALU_DEP_4)
	v_and_or_b32 v45, v45, 15, 0x4b000000
	v_and_or_b32 v66, v66, 15, 0x4b000000
	s_delay_alu instid0(VALU_DEP_3) | instskip(SKIP_2) | instid1(VALU_DEP_4)
	v_and_or_b32 v64, 0xffff0000, v68, v67
	v_and_or_b32 v67, v46, 15, 0x4b000000
	v_ashrrev_i32_e32 v46, 16, v46
	v_add_f32_e32 v65, 0xcb000008, v66
	s_delay_alu instid0(VALU_DEP_2) | instskip(SKIP_1) | instid1(VALU_DEP_3)
	v_lshrrev_b32_e32 v68, 4, v46
	v_lshrrev_b32_e32 v69, 12, v46
	;; [unrolled: 1-line block ×3, first 2 shown]
	s_delay_alu instid0(VALU_DEP_3)
	v_and_or_b32 v66, v68, 15, 0x4b000000
	v_lshrrev_b32_e32 v68, 8, v46
	v_and_or_b32 v46, v46, 15, 0x4b000000
	v_add_f32_e32 v67, 0xcb000008, v67
	v_and_or_b32 v69, v69, 15, 0x4b000000
	v_add_f32_e32 v66, 0xcb000008, v66
	v_and_or_b32 v68, v68, 15, 0x4b000000
	v_dual_add_f32 v45, 0xcb000008, v45 :: v_dual_add_f32 v46, 0xcb000008, v46
	s_delay_alu instid0(VALU_DEP_3) | instskip(NEXT) | instid1(VALU_DEP_3)
	v_lshrrev_b32_e32 v72, 16, v66
	v_add_f32_e32 v68, 0xcb000008, v68
	s_delay_alu instid0(VALU_DEP_3) | instskip(SKIP_2) | instid1(VALU_DEP_3)
	v_lshrrev_b32_e32 v45, 16, v45
	v_and_or_b32 v66, 0xffff0000, v70, v71
	v_ashrrev_i32_e32 v70, 16, v47
	v_and_or_b32 v65, 0xffff0000, v67, v45
	v_and_or_b32 v67, 0xffff0000, v46, v72
	v_lshrrev_b32_e32 v46, 8, v47
	v_lshrrev_b32_e32 v45, 4, v47
	;; [unrolled: 1-line block ×5, first 2 shown]
	v_and_or_b32 v46, v46, 15, 0x4b000000
	v_add_f32_e32 v69, 0xcb000008, v69
	v_and_or_b32 v45, v45, 15, 0x4b000000
	v_and_or_b32 v71, v71, 15, 0x4b000000
	;; [unrolled: 1-line block ×3, first 2 shown]
	v_add_f32_e32 v46, 0xcb000008, v46
	v_lshrrev_b32_e32 v69, 16, v69
	v_add_f32_e32 v45, 0xcb000008, v45
	s_delay_alu instid0(VALU_DEP_4) | instskip(SKIP_1) | instid1(VALU_DEP_4)
	v_dual_add_f32 v71, 0xcb000008, v71 :: v_dual_add_f32 v70, 0xcb000008, v70
	v_and_or_b32 v72, v72, 15, 0x4b000000
	v_and_or_b32 v68, 0xffff0000, v68, v69
	v_lshrrev_b32_e32 v69, 12, v47
	v_and_or_b32 v47, v47, 15, 0x4b000000
	v_lshrrev_b32_e32 v45, 16, v45
	v_lshrrev_b32_e32 v71, 16, v71
	v_and_or_b32 v73, v73, 15, 0x4b000000
	v_and_or_b32 v69, v69, 15, 0x4b000000
	v_dual_add_f32 v47, 0xcb000008, v47 :: v_dual_add_f32 v72, 0xcb000008, v72
	s_delay_alu instid0(VALU_DEP_1) | instskip(SKIP_2) | instid1(VALU_DEP_4)
	v_and_or_b32 v45, 0xffff0000, v47, v45
	v_and_or_b32 v47, 0xffff0000, v70, v71
	v_lshrrev_b32_e32 v70, 4, v48
	v_lshrrev_b32_e32 v71, 16, v72
	;; [unrolled: 1-line block ×3, first 2 shown]
	s_delay_alu instid0(VALU_DEP_3) | instskip(SKIP_1) | instid1(VALU_DEP_3)
	v_and_or_b32 v70, v70, 15, 0x4b000000
	v_add_f32_e32 v69, 0xcb000008, v69
	v_and_or_b32 v72, v72, 15, 0x4b000000
	s_delay_alu instid0(VALU_DEP_3) | instskip(NEXT) | instid1(VALU_DEP_3)
	v_add_f32_e32 v70, 0xcb000008, v70
	v_lshrrev_b32_e32 v69, 16, v69
	s_delay_alu instid0(VALU_DEP_3) | instskip(NEXT) | instid1(VALU_DEP_3)
	v_add_f32_e32 v72, 0xcb000008, v72
	v_lshrrev_b32_e32 v70, 16, v70
	s_delay_alu instid0(VALU_DEP_3) | instskip(SKIP_3) | instid1(VALU_DEP_2)
	v_and_or_b32 v46, 0xffff0000, v46, v69
	v_add_f32_e32 v69, 0xcb000008, v73
	v_lshrrev_b32_e32 v73, 12, v48
	v_ashrrev_i32_e32 v48, 16, v48
	v_and_or_b32 v73, v73, 15, 0x4b000000
	s_delay_alu instid0(VALU_DEP_2)
	v_lshrrev_b32_e32 v75, 4, v48
	v_lshrrev_b32_e32 v76, 12, v48
	;; [unrolled: 1-line block ×3, first 2 shown]
	v_and_or_b32 v48, v48, 15, 0x4b000000
	v_add_f32_e32 v73, 0xcb000008, v73
	v_and_or_b32 v75, v75, 15, 0x4b000000
	v_and_or_b32 v76, v76, 15, 0x4b000000
	;; [unrolled: 1-line block ×3, first 2 shown]
	v_add_f32_e32 v78, 0xcb000008, v48
	v_lshrrev_b32_e32 v73, 16, v73
	s_delay_alu instid0(VALU_DEP_4) | instskip(NEXT) | instid1(VALU_DEP_4)
	v_dual_add_f32 v75, 0xcb000008, v75 :: v_dual_add_f32 v76, 0xcb000008, v76
	v_add_f32_e32 v77, 0xcb000008, v77
	v_and_or_b32 v48, 0xffff0000, v69, v71
	v_and_or_b32 v69, 0xffff0000, v74, v70
	s_delay_alu instid0(VALU_DEP_4) | instskip(SKIP_2) | instid1(VALU_DEP_3)
	v_lshrrev_b32_e32 v75, 16, v75
	v_lshrrev_b32_e32 v76, 16, v76
	v_and_or_b32 v70, 0xffff0000, v72, v73
	v_and_or_b32 v71, 0xffff0000, v78, v75
	s_delay_alu instid0(VALU_DEP_3) | instskip(SKIP_3) | instid1(VALU_DEP_1)
	v_and_or_b32 v72, 0xffff0000, v77, v76
	; sched_barrier mask(0x00000000)
	s_barrier_signal -1
	s_barrier_wait -1
	; sched_barrier mask(0x00000000)
	v_wmma_f32_16x16x16_bf16 v[1:8], v[49:52], v[21:24], v[1:8]
	v_wmma_f32_16x16x16_bf16 v[1:8], v[53:56], v[25:28], v[1:8]
	s_delay_alu instid0(VALU_DEP_1) | instskip(NEXT) | instid1(VALU_DEP_1)
	v_wmma_f32_16x16x16_bf16 v[1:8], v[57:60], v[29:32], v[1:8]
	v_wmma_f32_16x16x16_bf16 v[1:8], v[17:20], v[33:36], v[1:8]
	; sched_barrier mask(0x00000000)
	s_setprio 1
	; sched_barrier mask(0x00000000)
	; sched_barrier mask(0x00000000)
	s_wait_dscnt 0x0
	s_barrier_signal -1
	s_barrier_wait -1
	; sched_barrier mask(0x00000000)
	v_wmma_f32_16x16x16_bf16 v[1:8], v[61:64], v[37:40], v[1:8]
	s_delay_alu instid0(VALU_DEP_1) | instskip(NEXT) | instid1(VALU_DEP_1)
	v_wmma_f32_16x16x16_bf16 v[1:8], v[65:68], v[41:44], v[1:8]
	v_wmma_f32_16x16x16_bf16 v[1:8], v[45:48], v[13:16], v[1:8]
	s_delay_alu instid0(VALU_DEP_1) | instskip(SKIP_1) | instid1(VALU_DEP_1)
	v_wmma_f32_16x16x16_bf16 v[1:8], v[69:72], v[9:12], v[1:8]
	; sched_barrier mask(0x00000000)
	s_setprio 0
	; sched_barrier mask(0x00000000)
	v_bfe_u32 v12, v1, 16, 1
	v_or_b32_e32 v13, 0x400000, v1
	s_delay_alu instid0(VALU_DEP_3)
	v_bfe_u32 v16, v3, 16, 1
	v_cmp_u_f32_e32 vcc_lo, v1, v1
	v_bfe_u32 v20, v5, 16, 1
	v_add3_u32 v12, v12, v1, 0x7fff
	v_lshlrev_b32_e32 v9, 3, v0
	v_lshlrev_b32_e32 v0, 7, v0
	v_add3_u32 v16, v16, v3, 0x7fff
	v_or_b32_e32 v18, 0x400000, v3
	v_cndmask_b32_e32 v12, v12, v13, vcc_lo
	v_cmp_u_f32_e32 vcc_lo, v3, v3
	v_add3_u32 v3, v20, v5, 0x7fff
	v_and_b32_e32 v14, 56, v9
	v_lshl_or_b32 v11, s15, 4, v91
	s_wait_alu 0xfffd
	v_dual_cndmask_b32 v16, v16, v18 :: v_dual_and_b32 v17, 0x780, v0
	v_or_b32_e32 v19, 0x400000, v4
	v_or_b32_e32 v9, s6, v14
	v_cmp_u_f32_e32 vcc_lo, v4, v4
	v_and_b32_e32 v10, 56, v92
	v_bfe_u32 v18, v6, 16, 1
	v_bfe_u32 v20, v8, 16, 1
	;; [unrolled: 1-line block ×3, first 2 shown]
	v_or_b32_e32 v21, 0x400000, v6
	v_mad_co_u64_u32 v[0:1], null, v11, s13, v[9:10]
	v_bfe_u32 v1, v4, 16, 1
	s_delay_alu instid0(VALU_DEP_4)
	v_add3_u32 v13, v15, v2, 0x7fff
	v_or_b32_e32 v15, 0x400000, v2
	v_cmp_gt_i32_e64 s0, s5, v9
	s_wait_dscnt 0x0
	v_add3_u32 v1, v1, v4, 0x7fff
	v_or_b32_e32 v4, 0x400000, v5
	s_barrier_signal -1
	s_barrier_wait -1
	s_wait_alu 0xfffd
	v_cndmask_b32_e32 v1, v1, v19, vcc_lo
	v_bfe_u32 v19, v7, 16, 1
	v_cmp_u_f32_e32 vcc_lo, v5, v5
	v_lshl_or_b32 v10, v10, 1, v17
	s_delay_alu instid0(VALU_DEP_3)
	v_add3_u32 v5, v19, v7, 0x7fff
	s_wait_alu 0xfffd
	v_cndmask_b32_e32 v3, v3, v4, vcc_lo
	v_add3_u32 v4, v18, v6, 0x7fff
	v_or_b32_e32 v18, 0x400000, v7
	v_cmp_u_f32_e32 vcc_lo, v7, v7
	v_add3_u32 v19, v20, v8, 0x7fff
	v_or_b32_e32 v20, 0x400000, v8
	s_wait_alu 0xfffd
	v_cndmask_b32_e32 v5, v5, v18, vcc_lo
	v_cmp_u_f32_e32 vcc_lo, v8, v8
	s_wait_alu 0xfffd
	v_cndmask_b32_e32 v7, v19, v20, vcc_lo
	v_cmp_u_f32_e32 vcc_lo, v6, v6
	;; [unrolled: 3-line block ×3, first 2 shown]
	v_perm_b32 v4, v7, v5, 0x7060302
	v_perm_b32 v2, v1, v16, 0x7060302
	v_lshl_or_b32 v5, v91, 6, v14
	v_perm_b32 v3, v6, v3, 0x7060302
	s_wait_alu 0xfffd
	v_cndmask_b32_e32 v8, v13, v15, vcc_lo
	v_cmp_gt_i32_e32 vcc_lo, s4, v11
	s_delay_alu instid0(VALU_DEP_2)
	v_perm_b32 v1, v8, v12, 0x7060302
	s_and_b32 s0, vcc_lo, s0
	ds_store_b128 v10, v[1:4]
	v_ashrrev_i32_e32 v1, 31, v0
	v_lshlrev_b32_e32 v2, 1, v5
	s_wait_dscnt 0x0
	s_barrier_signal -1
	s_barrier_wait -1
	s_and_saveexec_b32 s1, s0
	s_cbranch_execz .LBB6_15
; %bb.14:
	ds_load_b64 v[3:4], v2
	v_lshlrev_b64_e32 v[5:6], 1, v[0:1]
	s_delay_alu instid0(VALU_DEP_1) | instskip(NEXT) | instid1(VALU_DEP_1)
	v_add_co_u32 v5, s0, s2, v5
	v_add_co_ci_u32_e64 v6, null, s3, v6, s0
	s_wait_dscnt 0x0
	s_clause 0x1
	global_atomic_pk_add_bf16 v[5:6], v3, off scope:SCOPE_DEV
	global_atomic_pk_add_bf16 v[5:6], v4, off offset:4 scope:SCOPE_DEV
.LBB6_15:
	s_or_b32 exec_lo, exec_lo, s1
	v_or_b32_e32 v3, 4, v9
	s_delay_alu instid0(VALU_DEP_1)
	v_cmp_gt_i32_e64 s0, s5, v3
	s_and_b32 s0, vcc_lo, s0
	s_wait_alu 0xfffe
	s_and_saveexec_b32 s1, s0
	s_cbranch_execz .LBB6_17
; %bb.16:
	ds_load_b64 v[2:3], v2 offset:8
	v_lshlrev_b64_e32 v[0:1], 1, v[0:1]
	s_delay_alu instid0(VALU_DEP_1) | instskip(SKIP_1) | instid1(VALU_DEP_2)
	v_add_co_u32 v0, vcc_lo, s2, v0
	s_wait_alu 0xfffd
	v_add_co_ci_u32_e64 v1, null, s3, v1, vcc_lo
	s_wait_dscnt 0x0
	s_clause 0x1
	global_atomic_pk_add_bf16 v[0:1], v2, off offset:8 scope:SCOPE_DEV
	global_atomic_pk_add_bf16 v[0:1], v3, off offset:12 scope:SCOPE_DEV
.LBB6_17:
	s_nop 0
	s_sendmsg sendmsg(MSG_DEALLOC_VGPRS)
	s_endpgm
	.section	.rodata,"a",@progbits
	.p2align	6, 0x0
	.amdhsa_kernel _ZN2ck27kernel_gemm_xdl_cshuffle_v3INS_28GridwiseGemm_xdl_cshuffle_v3INS_13tensor_layout4gemm8RowMajorENS3_11ColumnMajorES4_DF16bNS_7pk_i4_tEfDF16bDF16bNS_16tensor_operation12element_wise11PassThroughES9_S9_LNS7_6device18GemmSpecializationE0ELi128ELi16ELi64ELi128ELi8ELi32ELi16ELi16ELi1ELi1ENS_8SequenceIJLi16ELi8ELi1EEEENSC_IJLi1ELi0ELi2EEEESE_Li2ELi8ELi8ELb0ELi0ENSC_IJLi4ELi32ELi1EEEESE_SE_Li2ELi32ELi32ELb0ELi0ELi1ELi1ENSC_IJLi1ELi16ELi1ELi8EEEELi4ELNS_26BlockGemmPipelineSchedulerE1ELNS_24BlockGemmPipelineVersionE1EDF16bDF16bLb0ELb1ELb0ELi0ELb0EEELb1ELNS_25InMemoryDataOperationEnumE1ELi2ELNS_10TailNumberE10EEEvNT_8ArgumentE
		.amdhsa_group_segment_fixed_size 8192
		.amdhsa_private_segment_fixed_size 0
		.amdhsa_kernarg_size 112
		.amdhsa_user_sgpr_count 2
		.amdhsa_user_sgpr_dispatch_ptr 0
		.amdhsa_user_sgpr_queue_ptr 0
		.amdhsa_user_sgpr_kernarg_segment_ptr 1
		.amdhsa_user_sgpr_dispatch_id 0
		.amdhsa_user_sgpr_private_segment_size 0
		.amdhsa_wavefront_size32 1
		.amdhsa_uses_dynamic_stack 0
		.amdhsa_enable_private_segment 0
		.amdhsa_system_sgpr_workgroup_id_x 1
		.amdhsa_system_sgpr_workgroup_id_y 0
		.amdhsa_system_sgpr_workgroup_id_z 1
		.amdhsa_system_sgpr_workgroup_info 0
		.amdhsa_system_vgpr_workitem_id 0
		.amdhsa_next_free_vgpr 149
		.amdhsa_next_free_sgpr 29
		.amdhsa_reserve_vcc 1
		.amdhsa_float_round_mode_32 0
		.amdhsa_float_round_mode_16_64 0
		.amdhsa_float_denorm_mode_32 3
		.amdhsa_float_denorm_mode_16_64 3
		.amdhsa_fp16_overflow 0
		.amdhsa_workgroup_processor_mode 1
		.amdhsa_memory_ordered 1
		.amdhsa_forward_progress 1
		.amdhsa_inst_pref_size 134
		.amdhsa_round_robin_scheduling 0
		.amdhsa_exception_fp_ieee_invalid_op 0
		.amdhsa_exception_fp_denorm_src 0
		.amdhsa_exception_fp_ieee_div_zero 0
		.amdhsa_exception_fp_ieee_overflow 0
		.amdhsa_exception_fp_ieee_underflow 0
		.amdhsa_exception_fp_ieee_inexact 0
		.amdhsa_exception_int_div_zero 0
	.end_amdhsa_kernel
	.section	.text._ZN2ck27kernel_gemm_xdl_cshuffle_v3INS_28GridwiseGemm_xdl_cshuffle_v3INS_13tensor_layout4gemm8RowMajorENS3_11ColumnMajorES4_DF16bNS_7pk_i4_tEfDF16bDF16bNS_16tensor_operation12element_wise11PassThroughES9_S9_LNS7_6device18GemmSpecializationE0ELi128ELi16ELi64ELi128ELi8ELi32ELi16ELi16ELi1ELi1ENS_8SequenceIJLi16ELi8ELi1EEEENSC_IJLi1ELi0ELi2EEEESE_Li2ELi8ELi8ELb0ELi0ENSC_IJLi4ELi32ELi1EEEESE_SE_Li2ELi32ELi32ELb0ELi0ELi1ELi1ENSC_IJLi1ELi16ELi1ELi8EEEELi4ELNS_26BlockGemmPipelineSchedulerE1ELNS_24BlockGemmPipelineVersionE1EDF16bDF16bLb0ELb1ELb0ELi0ELb0EEELb1ELNS_25InMemoryDataOperationEnumE1ELi2ELNS_10TailNumberE10EEEvNT_8ArgumentE,"axG",@progbits,_ZN2ck27kernel_gemm_xdl_cshuffle_v3INS_28GridwiseGemm_xdl_cshuffle_v3INS_13tensor_layout4gemm8RowMajorENS3_11ColumnMajorES4_DF16bNS_7pk_i4_tEfDF16bDF16bNS_16tensor_operation12element_wise11PassThroughES9_S9_LNS7_6device18GemmSpecializationE0ELi128ELi16ELi64ELi128ELi8ELi32ELi16ELi16ELi1ELi1ENS_8SequenceIJLi16ELi8ELi1EEEENSC_IJLi1ELi0ELi2EEEESE_Li2ELi8ELi8ELb0ELi0ENSC_IJLi4ELi32ELi1EEEESE_SE_Li2ELi32ELi32ELb0ELi0ELi1ELi1ENSC_IJLi1ELi16ELi1ELi8EEEELi4ELNS_26BlockGemmPipelineSchedulerE1ELNS_24BlockGemmPipelineVersionE1EDF16bDF16bLb0ELb1ELb0ELi0ELb0EEELb1ELNS_25InMemoryDataOperationEnumE1ELi2ELNS_10TailNumberE10EEEvNT_8ArgumentE,comdat
.Lfunc_end6:
	.size	_ZN2ck27kernel_gemm_xdl_cshuffle_v3INS_28GridwiseGemm_xdl_cshuffle_v3INS_13tensor_layout4gemm8RowMajorENS3_11ColumnMajorES4_DF16bNS_7pk_i4_tEfDF16bDF16bNS_16tensor_operation12element_wise11PassThroughES9_S9_LNS7_6device18GemmSpecializationE0ELi128ELi16ELi64ELi128ELi8ELi32ELi16ELi16ELi1ELi1ENS_8SequenceIJLi16ELi8ELi1EEEENSC_IJLi1ELi0ELi2EEEESE_Li2ELi8ELi8ELb0ELi0ENSC_IJLi4ELi32ELi1EEEESE_SE_Li2ELi32ELi32ELb0ELi0ELi1ELi1ENSC_IJLi1ELi16ELi1ELi8EEEELi4ELNS_26BlockGemmPipelineSchedulerE1ELNS_24BlockGemmPipelineVersionE1EDF16bDF16bLb0ELb1ELb0ELi0ELb0EEELb1ELNS_25InMemoryDataOperationEnumE1ELi2ELNS_10TailNumberE10EEEvNT_8ArgumentE, .Lfunc_end6-_ZN2ck27kernel_gemm_xdl_cshuffle_v3INS_28GridwiseGemm_xdl_cshuffle_v3INS_13tensor_layout4gemm8RowMajorENS3_11ColumnMajorES4_DF16bNS_7pk_i4_tEfDF16bDF16bNS_16tensor_operation12element_wise11PassThroughES9_S9_LNS7_6device18GemmSpecializationE0ELi128ELi16ELi64ELi128ELi8ELi32ELi16ELi16ELi1ELi1ENS_8SequenceIJLi16ELi8ELi1EEEENSC_IJLi1ELi0ELi2EEEESE_Li2ELi8ELi8ELb0ELi0ENSC_IJLi4ELi32ELi1EEEESE_SE_Li2ELi32ELi32ELb0ELi0ELi1ELi1ENSC_IJLi1ELi16ELi1ELi8EEEELi4ELNS_26BlockGemmPipelineSchedulerE1ELNS_24BlockGemmPipelineVersionE1EDF16bDF16bLb0ELb1ELb0ELi0ELb0EEELb1ELNS_25InMemoryDataOperationEnumE1ELi2ELNS_10TailNumberE10EEEvNT_8ArgumentE
                                        ; -- End function
	.set _ZN2ck27kernel_gemm_xdl_cshuffle_v3INS_28GridwiseGemm_xdl_cshuffle_v3INS_13tensor_layout4gemm8RowMajorENS3_11ColumnMajorES4_DF16bNS_7pk_i4_tEfDF16bDF16bNS_16tensor_operation12element_wise11PassThroughES9_S9_LNS7_6device18GemmSpecializationE0ELi128ELi16ELi64ELi128ELi8ELi32ELi16ELi16ELi1ELi1ENS_8SequenceIJLi16ELi8ELi1EEEENSC_IJLi1ELi0ELi2EEEESE_Li2ELi8ELi8ELb0ELi0ENSC_IJLi4ELi32ELi1EEEESE_SE_Li2ELi32ELi32ELb0ELi0ELi1ELi1ENSC_IJLi1ELi16ELi1ELi8EEEELi4ELNS_26BlockGemmPipelineSchedulerE1ELNS_24BlockGemmPipelineVersionE1EDF16bDF16bLb0ELb1ELb0ELi0ELb0EEELb1ELNS_25InMemoryDataOperationEnumE1ELi2ELNS_10TailNumberE10EEEvNT_8ArgumentE.num_vgpr, 149
	.set _ZN2ck27kernel_gemm_xdl_cshuffle_v3INS_28GridwiseGemm_xdl_cshuffle_v3INS_13tensor_layout4gemm8RowMajorENS3_11ColumnMajorES4_DF16bNS_7pk_i4_tEfDF16bDF16bNS_16tensor_operation12element_wise11PassThroughES9_S9_LNS7_6device18GemmSpecializationE0ELi128ELi16ELi64ELi128ELi8ELi32ELi16ELi16ELi1ELi1ENS_8SequenceIJLi16ELi8ELi1EEEENSC_IJLi1ELi0ELi2EEEESE_Li2ELi8ELi8ELb0ELi0ENSC_IJLi4ELi32ELi1EEEESE_SE_Li2ELi32ELi32ELb0ELi0ELi1ELi1ENSC_IJLi1ELi16ELi1ELi8EEEELi4ELNS_26BlockGemmPipelineSchedulerE1ELNS_24BlockGemmPipelineVersionE1EDF16bDF16bLb0ELb1ELb0ELi0ELb0EEELb1ELNS_25InMemoryDataOperationEnumE1ELi2ELNS_10TailNumberE10EEEvNT_8ArgumentE.num_agpr, 0
	.set _ZN2ck27kernel_gemm_xdl_cshuffle_v3INS_28GridwiseGemm_xdl_cshuffle_v3INS_13tensor_layout4gemm8RowMajorENS3_11ColumnMajorES4_DF16bNS_7pk_i4_tEfDF16bDF16bNS_16tensor_operation12element_wise11PassThroughES9_S9_LNS7_6device18GemmSpecializationE0ELi128ELi16ELi64ELi128ELi8ELi32ELi16ELi16ELi1ELi1ENS_8SequenceIJLi16ELi8ELi1EEEENSC_IJLi1ELi0ELi2EEEESE_Li2ELi8ELi8ELb0ELi0ENSC_IJLi4ELi32ELi1EEEESE_SE_Li2ELi32ELi32ELb0ELi0ELi1ELi1ENSC_IJLi1ELi16ELi1ELi8EEEELi4ELNS_26BlockGemmPipelineSchedulerE1ELNS_24BlockGemmPipelineVersionE1EDF16bDF16bLb0ELb1ELb0ELi0ELb0EEELb1ELNS_25InMemoryDataOperationEnumE1ELi2ELNS_10TailNumberE10EEEvNT_8ArgumentE.numbered_sgpr, 29
	.set _ZN2ck27kernel_gemm_xdl_cshuffle_v3INS_28GridwiseGemm_xdl_cshuffle_v3INS_13tensor_layout4gemm8RowMajorENS3_11ColumnMajorES4_DF16bNS_7pk_i4_tEfDF16bDF16bNS_16tensor_operation12element_wise11PassThroughES9_S9_LNS7_6device18GemmSpecializationE0ELi128ELi16ELi64ELi128ELi8ELi32ELi16ELi16ELi1ELi1ENS_8SequenceIJLi16ELi8ELi1EEEENSC_IJLi1ELi0ELi2EEEESE_Li2ELi8ELi8ELb0ELi0ENSC_IJLi4ELi32ELi1EEEESE_SE_Li2ELi32ELi32ELb0ELi0ELi1ELi1ENSC_IJLi1ELi16ELi1ELi8EEEELi4ELNS_26BlockGemmPipelineSchedulerE1ELNS_24BlockGemmPipelineVersionE1EDF16bDF16bLb0ELb1ELb0ELi0ELb0EEELb1ELNS_25InMemoryDataOperationEnumE1ELi2ELNS_10TailNumberE10EEEvNT_8ArgumentE.num_named_barrier, 0
	.set _ZN2ck27kernel_gemm_xdl_cshuffle_v3INS_28GridwiseGemm_xdl_cshuffle_v3INS_13tensor_layout4gemm8RowMajorENS3_11ColumnMajorES4_DF16bNS_7pk_i4_tEfDF16bDF16bNS_16tensor_operation12element_wise11PassThroughES9_S9_LNS7_6device18GemmSpecializationE0ELi128ELi16ELi64ELi128ELi8ELi32ELi16ELi16ELi1ELi1ENS_8SequenceIJLi16ELi8ELi1EEEENSC_IJLi1ELi0ELi2EEEESE_Li2ELi8ELi8ELb0ELi0ENSC_IJLi4ELi32ELi1EEEESE_SE_Li2ELi32ELi32ELb0ELi0ELi1ELi1ENSC_IJLi1ELi16ELi1ELi8EEEELi4ELNS_26BlockGemmPipelineSchedulerE1ELNS_24BlockGemmPipelineVersionE1EDF16bDF16bLb0ELb1ELb0ELi0ELb0EEELb1ELNS_25InMemoryDataOperationEnumE1ELi2ELNS_10TailNumberE10EEEvNT_8ArgumentE.private_seg_size, 0
	.set _ZN2ck27kernel_gemm_xdl_cshuffle_v3INS_28GridwiseGemm_xdl_cshuffle_v3INS_13tensor_layout4gemm8RowMajorENS3_11ColumnMajorES4_DF16bNS_7pk_i4_tEfDF16bDF16bNS_16tensor_operation12element_wise11PassThroughES9_S9_LNS7_6device18GemmSpecializationE0ELi128ELi16ELi64ELi128ELi8ELi32ELi16ELi16ELi1ELi1ENS_8SequenceIJLi16ELi8ELi1EEEENSC_IJLi1ELi0ELi2EEEESE_Li2ELi8ELi8ELb0ELi0ENSC_IJLi4ELi32ELi1EEEESE_SE_Li2ELi32ELi32ELb0ELi0ELi1ELi1ENSC_IJLi1ELi16ELi1ELi8EEEELi4ELNS_26BlockGemmPipelineSchedulerE1ELNS_24BlockGemmPipelineVersionE1EDF16bDF16bLb0ELb1ELb0ELi0ELb0EEELb1ELNS_25InMemoryDataOperationEnumE1ELi2ELNS_10TailNumberE10EEEvNT_8ArgumentE.uses_vcc, 1
	.set _ZN2ck27kernel_gemm_xdl_cshuffle_v3INS_28GridwiseGemm_xdl_cshuffle_v3INS_13tensor_layout4gemm8RowMajorENS3_11ColumnMajorES4_DF16bNS_7pk_i4_tEfDF16bDF16bNS_16tensor_operation12element_wise11PassThroughES9_S9_LNS7_6device18GemmSpecializationE0ELi128ELi16ELi64ELi128ELi8ELi32ELi16ELi16ELi1ELi1ENS_8SequenceIJLi16ELi8ELi1EEEENSC_IJLi1ELi0ELi2EEEESE_Li2ELi8ELi8ELb0ELi0ENSC_IJLi4ELi32ELi1EEEESE_SE_Li2ELi32ELi32ELb0ELi0ELi1ELi1ENSC_IJLi1ELi16ELi1ELi8EEEELi4ELNS_26BlockGemmPipelineSchedulerE1ELNS_24BlockGemmPipelineVersionE1EDF16bDF16bLb0ELb1ELb0ELi0ELb0EEELb1ELNS_25InMemoryDataOperationEnumE1ELi2ELNS_10TailNumberE10EEEvNT_8ArgumentE.uses_flat_scratch, 0
	.set _ZN2ck27kernel_gemm_xdl_cshuffle_v3INS_28GridwiseGemm_xdl_cshuffle_v3INS_13tensor_layout4gemm8RowMajorENS3_11ColumnMajorES4_DF16bNS_7pk_i4_tEfDF16bDF16bNS_16tensor_operation12element_wise11PassThroughES9_S9_LNS7_6device18GemmSpecializationE0ELi128ELi16ELi64ELi128ELi8ELi32ELi16ELi16ELi1ELi1ENS_8SequenceIJLi16ELi8ELi1EEEENSC_IJLi1ELi0ELi2EEEESE_Li2ELi8ELi8ELb0ELi0ENSC_IJLi4ELi32ELi1EEEESE_SE_Li2ELi32ELi32ELb0ELi0ELi1ELi1ENSC_IJLi1ELi16ELi1ELi8EEEELi4ELNS_26BlockGemmPipelineSchedulerE1ELNS_24BlockGemmPipelineVersionE1EDF16bDF16bLb0ELb1ELb0ELi0ELb0EEELb1ELNS_25InMemoryDataOperationEnumE1ELi2ELNS_10TailNumberE10EEEvNT_8ArgumentE.has_dyn_sized_stack, 0
	.set _ZN2ck27kernel_gemm_xdl_cshuffle_v3INS_28GridwiseGemm_xdl_cshuffle_v3INS_13tensor_layout4gemm8RowMajorENS3_11ColumnMajorES4_DF16bNS_7pk_i4_tEfDF16bDF16bNS_16tensor_operation12element_wise11PassThroughES9_S9_LNS7_6device18GemmSpecializationE0ELi128ELi16ELi64ELi128ELi8ELi32ELi16ELi16ELi1ELi1ENS_8SequenceIJLi16ELi8ELi1EEEENSC_IJLi1ELi0ELi2EEEESE_Li2ELi8ELi8ELb0ELi0ENSC_IJLi4ELi32ELi1EEEESE_SE_Li2ELi32ELi32ELb0ELi0ELi1ELi1ENSC_IJLi1ELi16ELi1ELi8EEEELi4ELNS_26BlockGemmPipelineSchedulerE1ELNS_24BlockGemmPipelineVersionE1EDF16bDF16bLb0ELb1ELb0ELi0ELb0EEELb1ELNS_25InMemoryDataOperationEnumE1ELi2ELNS_10TailNumberE10EEEvNT_8ArgumentE.has_recursion, 0
	.set _ZN2ck27kernel_gemm_xdl_cshuffle_v3INS_28GridwiseGemm_xdl_cshuffle_v3INS_13tensor_layout4gemm8RowMajorENS3_11ColumnMajorES4_DF16bNS_7pk_i4_tEfDF16bDF16bNS_16tensor_operation12element_wise11PassThroughES9_S9_LNS7_6device18GemmSpecializationE0ELi128ELi16ELi64ELi128ELi8ELi32ELi16ELi16ELi1ELi1ENS_8SequenceIJLi16ELi8ELi1EEEENSC_IJLi1ELi0ELi2EEEESE_Li2ELi8ELi8ELb0ELi0ENSC_IJLi4ELi32ELi1EEEESE_SE_Li2ELi32ELi32ELb0ELi0ELi1ELi1ENSC_IJLi1ELi16ELi1ELi8EEEELi4ELNS_26BlockGemmPipelineSchedulerE1ELNS_24BlockGemmPipelineVersionE1EDF16bDF16bLb0ELb1ELb0ELi0ELb0EEELb1ELNS_25InMemoryDataOperationEnumE1ELi2ELNS_10TailNumberE10EEEvNT_8ArgumentE.has_indirect_call, 0
	.section	.AMDGPU.csdata,"",@progbits
; Kernel info:
; codeLenInByte = 17064
; TotalNumSgprs: 31
; NumVgprs: 149
; ScratchSize: 0
; MemoryBound: 0
; FloatMode: 240
; IeeeMode: 1
; LDSByteSize: 8192 bytes/workgroup (compile time only)
; SGPRBlocks: 0
; VGPRBlocks: 18
; NumSGPRsForWavesPerEU: 31
; NumVGPRsForWavesPerEU: 149
; Occupancy: 9
; WaveLimiterHint : 0
; COMPUTE_PGM_RSRC2:SCRATCH_EN: 0
; COMPUTE_PGM_RSRC2:USER_SGPR: 2
; COMPUTE_PGM_RSRC2:TRAP_HANDLER: 0
; COMPUTE_PGM_RSRC2:TGID_X_EN: 1
; COMPUTE_PGM_RSRC2:TGID_Y_EN: 0
; COMPUTE_PGM_RSRC2:TGID_Z_EN: 1
; COMPUTE_PGM_RSRC2:TIDIG_COMP_CNT: 0
	.section	.text._ZN2ck27kernel_gemm_xdl_cshuffle_v3INS_28GridwiseGemm_xdl_cshuffle_v3INS_13tensor_layout4gemm8RowMajorENS3_11ColumnMajorES4_DF16bNS_7pk_i4_tEfDF16bDF16bNS_16tensor_operation12element_wise11PassThroughES9_S9_LNS7_6device18GemmSpecializationE0ELi128ELi16ELi64ELi128ELi8ELi32ELi16ELi16ELi1ELi1ENS_8SequenceIJLi16ELi8ELi1EEEENSC_IJLi1ELi0ELi2EEEESE_Li2ELi8ELi8ELb0ELi0ENSC_IJLi4ELi32ELi1EEEESE_SE_Li2ELi32ELi32ELb0ELi0ELi1ELi1ENSC_IJLi1ELi16ELi1ELi8EEEELi4ELNS_26BlockGemmPipelineSchedulerE1ELNS_24BlockGemmPipelineVersionE1EDF16bDF16bLb0ELb1ELb0ELi0ELb0EEELb1ELNS_25InMemoryDataOperationEnumE1ELi2ELNS_10TailNumberE3EEEvNT_8ArgumentE,"axG",@progbits,_ZN2ck27kernel_gemm_xdl_cshuffle_v3INS_28GridwiseGemm_xdl_cshuffle_v3INS_13tensor_layout4gemm8RowMajorENS3_11ColumnMajorES4_DF16bNS_7pk_i4_tEfDF16bDF16bNS_16tensor_operation12element_wise11PassThroughES9_S9_LNS7_6device18GemmSpecializationE0ELi128ELi16ELi64ELi128ELi8ELi32ELi16ELi16ELi1ELi1ENS_8SequenceIJLi16ELi8ELi1EEEENSC_IJLi1ELi0ELi2EEEESE_Li2ELi8ELi8ELb0ELi0ENSC_IJLi4ELi32ELi1EEEESE_SE_Li2ELi32ELi32ELb0ELi0ELi1ELi1ENSC_IJLi1ELi16ELi1ELi8EEEELi4ELNS_26BlockGemmPipelineSchedulerE1ELNS_24BlockGemmPipelineVersionE1EDF16bDF16bLb0ELb1ELb0ELi0ELb0EEELb1ELNS_25InMemoryDataOperationEnumE1ELi2ELNS_10TailNumberE3EEEvNT_8ArgumentE,comdat
	.protected	_ZN2ck27kernel_gemm_xdl_cshuffle_v3INS_28GridwiseGemm_xdl_cshuffle_v3INS_13tensor_layout4gemm8RowMajorENS3_11ColumnMajorES4_DF16bNS_7pk_i4_tEfDF16bDF16bNS_16tensor_operation12element_wise11PassThroughES9_S9_LNS7_6device18GemmSpecializationE0ELi128ELi16ELi64ELi128ELi8ELi32ELi16ELi16ELi1ELi1ENS_8SequenceIJLi16ELi8ELi1EEEENSC_IJLi1ELi0ELi2EEEESE_Li2ELi8ELi8ELb0ELi0ENSC_IJLi4ELi32ELi1EEEESE_SE_Li2ELi32ELi32ELb0ELi0ELi1ELi1ENSC_IJLi1ELi16ELi1ELi8EEEELi4ELNS_26BlockGemmPipelineSchedulerE1ELNS_24BlockGemmPipelineVersionE1EDF16bDF16bLb0ELb1ELb0ELi0ELb0EEELb1ELNS_25InMemoryDataOperationEnumE1ELi2ELNS_10TailNumberE3EEEvNT_8ArgumentE ; -- Begin function _ZN2ck27kernel_gemm_xdl_cshuffle_v3INS_28GridwiseGemm_xdl_cshuffle_v3INS_13tensor_layout4gemm8RowMajorENS3_11ColumnMajorES4_DF16bNS_7pk_i4_tEfDF16bDF16bNS_16tensor_operation12element_wise11PassThroughES9_S9_LNS7_6device18GemmSpecializationE0ELi128ELi16ELi64ELi128ELi8ELi32ELi16ELi16ELi1ELi1ENS_8SequenceIJLi16ELi8ELi1EEEENSC_IJLi1ELi0ELi2EEEESE_Li2ELi8ELi8ELb0ELi0ENSC_IJLi4ELi32ELi1EEEESE_SE_Li2ELi32ELi32ELb0ELi0ELi1ELi1ENSC_IJLi1ELi16ELi1ELi8EEEELi4ELNS_26BlockGemmPipelineSchedulerE1ELNS_24BlockGemmPipelineVersionE1EDF16bDF16bLb0ELb1ELb0ELi0ELb0EEELb1ELNS_25InMemoryDataOperationEnumE1ELi2ELNS_10TailNumberE3EEEvNT_8ArgumentE
	.globl	_ZN2ck27kernel_gemm_xdl_cshuffle_v3INS_28GridwiseGemm_xdl_cshuffle_v3INS_13tensor_layout4gemm8RowMajorENS3_11ColumnMajorES4_DF16bNS_7pk_i4_tEfDF16bDF16bNS_16tensor_operation12element_wise11PassThroughES9_S9_LNS7_6device18GemmSpecializationE0ELi128ELi16ELi64ELi128ELi8ELi32ELi16ELi16ELi1ELi1ENS_8SequenceIJLi16ELi8ELi1EEEENSC_IJLi1ELi0ELi2EEEESE_Li2ELi8ELi8ELb0ELi0ENSC_IJLi4ELi32ELi1EEEESE_SE_Li2ELi32ELi32ELb0ELi0ELi1ELi1ENSC_IJLi1ELi16ELi1ELi8EEEELi4ELNS_26BlockGemmPipelineSchedulerE1ELNS_24BlockGemmPipelineVersionE1EDF16bDF16bLb0ELb1ELb0ELi0ELb0EEELb1ELNS_25InMemoryDataOperationEnumE1ELi2ELNS_10TailNumberE3EEEvNT_8ArgumentE
	.p2align	8
	.type	_ZN2ck27kernel_gemm_xdl_cshuffle_v3INS_28GridwiseGemm_xdl_cshuffle_v3INS_13tensor_layout4gemm8RowMajorENS3_11ColumnMajorES4_DF16bNS_7pk_i4_tEfDF16bDF16bNS_16tensor_operation12element_wise11PassThroughES9_S9_LNS7_6device18GemmSpecializationE0ELi128ELi16ELi64ELi128ELi8ELi32ELi16ELi16ELi1ELi1ENS_8SequenceIJLi16ELi8ELi1EEEENSC_IJLi1ELi0ELi2EEEESE_Li2ELi8ELi8ELb0ELi0ENSC_IJLi4ELi32ELi1EEEESE_SE_Li2ELi32ELi32ELb0ELi0ELi1ELi1ENSC_IJLi1ELi16ELi1ELi8EEEELi4ELNS_26BlockGemmPipelineSchedulerE1ELNS_24BlockGemmPipelineVersionE1EDF16bDF16bLb0ELb1ELb0ELi0ELb0EEELb1ELNS_25InMemoryDataOperationEnumE1ELi2ELNS_10TailNumberE3EEEvNT_8ArgumentE,@function
_ZN2ck27kernel_gemm_xdl_cshuffle_v3INS_28GridwiseGemm_xdl_cshuffle_v3INS_13tensor_layout4gemm8RowMajorENS3_11ColumnMajorES4_DF16bNS_7pk_i4_tEfDF16bDF16bNS_16tensor_operation12element_wise11PassThroughES9_S9_LNS7_6device18GemmSpecializationE0ELi128ELi16ELi64ELi128ELi8ELi32ELi16ELi16ELi1ELi1ENS_8SequenceIJLi16ELi8ELi1EEEENSC_IJLi1ELi0ELi2EEEESE_Li2ELi8ELi8ELb0ELi0ENSC_IJLi4ELi32ELi1EEEESE_SE_Li2ELi32ELi32ELb0ELi0ELi1ELi1ENSC_IJLi1ELi16ELi1ELi8EEEELi4ELNS_26BlockGemmPipelineSchedulerE1ELNS_24BlockGemmPipelineVersionE1EDF16bDF16bLb0ELb1ELb0ELi0ELb0EEELb1ELNS_25InMemoryDataOperationEnumE1ELi2ELNS_10TailNumberE3EEEvNT_8ArgumentE: ; @_ZN2ck27kernel_gemm_xdl_cshuffle_v3INS_28GridwiseGemm_xdl_cshuffle_v3INS_13tensor_layout4gemm8RowMajorENS3_11ColumnMajorES4_DF16bNS_7pk_i4_tEfDF16bDF16bNS_16tensor_operation12element_wise11PassThroughES9_S9_LNS7_6device18GemmSpecializationE0ELi128ELi16ELi64ELi128ELi8ELi32ELi16ELi16ELi1ELi1ENS_8SequenceIJLi16ELi8ELi1EEEENSC_IJLi1ELi0ELi2EEEESE_Li2ELi8ELi8ELb0ELi0ENSC_IJLi4ELi32ELi1EEEESE_SE_Li2ELi32ELi32ELb0ELi0ELi1ELi1ENSC_IJLi1ELi16ELi1ELi8EEEELi4ELNS_26BlockGemmPipelineSchedulerE1ELNS_24BlockGemmPipelineVersionE1EDF16bDF16bLb0ELb1ELb0ELi0ELb0EEELb1ELNS_25InMemoryDataOperationEnumE1ELi2ELNS_10TailNumberE3EEEvNT_8ArgumentE
; %bb.0:
	s_clause 0x4
	s_load_b96 s[12:14], s[0:1], 0x20
	s_load_b96 s[16:18], s[0:1], 0x60
	s_load_b128 s[4:7], s[0:1], 0x10
	s_load_b32 s22, s[0:1], 0x3c
	s_load_b128 s[8:11], s[0:1], 0x50
	s_lshr_b32 s2, ttmp7, 16
	s_mov_b32 s23, ttmp9
	s_wait_kmcnt 0x0
	s_cmp_gt_i32 s14, 1
	s_cselect_b32 s3, -1, 0
	s_bitcmp1_b32 s18, 0
	s_mov_b64 s[18:19], 0
	s_cselect_b32 s15, -1, 0
	s_delay_alu instid0(SALU_CYCLE_1) | instskip(NEXT) | instid1(SALU_CYCLE_1)
	s_and_b32 s3, s3, s15
	s_and_not1_b32 vcc_lo, exec_lo, s3
	s_cbranch_vccnz .LBB7_2
; %bb.1:
	s_mul_i32 s3, s4, s2
	s_delay_alu instid0(SALU_CYCLE_1) | instskip(NEXT) | instid1(SALU_CYCLE_1)
	s_mul_i32 s18, s3, s5
	s_ashr_i32 s19, s18, 31
.LBB7_2:
	s_load_b32 s3, s[0:1], 0x34
	s_add_co_i32 s0, s4, -1
	s_mov_b32 s21, 0
	s_cmp_lt_u32 s0, 16
	s_cbranch_scc1 .LBB7_6
; %bb.3:
	s_add_co_i32 s0, s5, -1
	s_delay_alu instid0(SALU_CYCLE_1)
	s_cmp_lt_u32 s0, 64
	s_mov_b32 s0, 0
	s_cbranch_scc1 .LBB7_10
; %bb.4:
	s_add_co_i32 s0, s4, 15
	s_add_co_i32 s1, s5, 63
	s_ashr_i32 s15, s0, 31
	s_ashr_i32 s20, s1, 31
	s_lshr_b32 s15, s15, 28
	s_lshr_b32 s20, s20, 26
	s_add_co_i32 s0, s0, s15
	s_add_co_i32 s15, s1, s20
	s_ashr_i32 s1, s0, 4
	s_ashr_i32 s0, s15, 6
	;; [unrolled: 1-line block ×3, first 2 shown]
	s_mul_i32 s15, s0, s1
	s_delay_alu instid0(SALU_CYCLE_1) | instskip(NEXT) | instid1(SALU_CYCLE_1)
	s_add_co_i32 s20, s15, 7
	s_ashr_i32 s24, s20, 31
	s_delay_alu instid0(SALU_CYCLE_1) | instskip(NEXT) | instid1(SALU_CYCLE_1)
	s_lshr_b32 s24, s24, 29
	s_add_co_i32 s24, s20, s24
	s_lshr_b32 s20, s25, 29
	s_and_b32 s26, s24, -8
	s_add_co_i32 s25, s23, s20
	s_sub_co_i32 s20, s15, s26
	s_and_b32 s15, s25, -8
	s_add_co_i32 s20, s20, 8
	s_sub_co_i32 s23, s23, s15
	s_ashr_i32 s24, s24, 3
	s_cmp_gt_i32 s23, s20
	s_cbranch_scc1 .LBB7_7
; %bb.5:
	s_mul_i32 s15, s24, s23
	s_ashr_i32 s25, s25, 3
	s_cbranch_execz .LBB7_8
	s_branch .LBB7_9
.LBB7_6:
	s_mov_b32 s15, 0
	s_branch .LBB7_11
.LBB7_7:
                                        ; implicit-def: $sgpr15
	s_ashr_i32 s25, s25, 3
.LBB7_8:
	s_add_co_i32 s15, s24, -1
	s_delay_alu instid0(SALU_CYCLE_1) | instskip(NEXT) | instid1(SALU_CYCLE_1)
	s_mul_i32 s15, s15, s23
	s_add_co_i32 s15, s20, s15
.LBB7_9:
	s_abs_i32 s20, s0
	s_add_co_i32 s15, s15, s25
	s_cvt_f32_u32 s23, s20
	s_sub_co_i32 s24, 0, s20
	s_abs_i32 s25, s15
	s_delay_alu instid0(SALU_CYCLE_1) | instskip(NEXT) | instid1(TRANS32_DEP_1)
	v_rcp_iflag_f32_e32 v1, s23
	v_readfirstlane_b32 s23, v1
	s_mul_f32 s23, s23, 0x4f7ffffe
	s_wait_alu 0xfffe
	s_delay_alu instid0(SALU_CYCLE_2) | instskip(SKIP_1) | instid1(SALU_CYCLE_2)
	s_cvt_u32_f32 s23, s23
	s_wait_alu 0xfffe
	s_mul_i32 s24, s24, s23
	s_delay_alu instid0(SALU_CYCLE_1) | instskip(NEXT) | instid1(SALU_CYCLE_1)
	s_mul_hi_u32 s24, s23, s24
	s_add_co_i32 s23, s23, s24
	s_xor_b32 s24, s15, s0
	s_wait_alu 0xfffe
	s_mul_hi_u32 s23, s25, s23
	s_ashr_i32 s24, s24, 31
	s_wait_alu 0xfffe
	s_mul_i32 s26, s23, s20
	s_delay_alu instid0(SALU_CYCLE_1)
	s_sub_co_i32 s25, s25, s26
	s_add_co_i32 s26, s23, 1
	s_sub_co_i32 s27, s25, s20
	s_cmp_ge_u32 s25, s20
	s_cselect_b32 s23, s26, s23
	s_cselect_b32 s25, s27, s25
	s_wait_alu 0xfffe
	s_add_co_i32 s26, s23, 1
	s_cmp_ge_u32 s25, s20
	s_cselect_b32 s20, s26, s23
	s_lshr_b32 s23, s1, 30
	s_xor_b32 s20, s20, s24
	s_wait_alu 0xfffe
	s_add_co_i32 s23, s1, s23
	s_sub_co_i32 s20, s20, s24
	s_wait_alu 0xfffe
	s_and_b32 s23, s23, -4
	s_mul_i32 s24, s20, s0
	s_wait_alu 0xfffe
	s_sub_co_i32 s1, s1, s23
	s_sub_co_i32 s15, s15, s24
	s_cmp_ge_i32 s20, s23
	s_cselect_b32 s1, s1, 4
	s_ashr_i32 s25, s20, 31
	s_abs_i32 s23, s1
	s_lshr_b32 s25, s25, 30
	s_wait_alu 0xfffe
	s_cvt_f32_u32 s24, s23
	s_add_co_i32 s25, s20, s25
	s_sub_co_i32 s26, 0, s23
	s_and_b32 s25, s25, -4
	v_rcp_iflag_f32_e32 v1, s24
	s_sub_co_i32 s25, s20, s25
	s_wait_alu 0xfffe
	s_mul_i32 s0, s25, s0
	s_delay_alu instid0(SALU_CYCLE_1) | instskip(NEXT) | instid1(TRANS32_DEP_1)
	s_add_co_i32 s15, s0, s15
	v_readfirstlane_b32 s24, v1
	s_mul_f32 s24, s24, 0x4f7ffffe
	s_wait_alu 0xfffe
	s_delay_alu instid0(SALU_CYCLE_2) | instskip(SKIP_1) | instid1(SALU_CYCLE_2)
	s_cvt_u32_f32 s24, s24
	s_wait_alu 0xfffe
	s_mul_i32 s26, s26, s24
	s_delay_alu instid0(SALU_CYCLE_1)
	s_mul_hi_u32 s0, s24, s26
	s_abs_i32 s26, s15
	s_add_co_i32 s24, s24, s0
	s_wait_alu 0xfffe
	s_mul_hi_u32 s0, s26, s24
	s_xor_b32 s24, s15, s1
	s_mul_i32 s27, s0, s23
	s_wait_alu 0xfffe
	s_ashr_i32 s24, s24, 31
	s_sub_co_i32 s26, s26, s27
	s_add_co_i32 s27, s0, 1
	s_sub_co_i32 s28, s26, s23
	s_cmp_ge_u32 s26, s23
	s_cselect_b32 s0, s27, s0
	s_cselect_b32 s26, s28, s26
	s_add_co_i32 s27, s0, 1
	s_cmp_ge_u32 s26, s23
	s_cselect_b32 s0, s27, s0
	s_wait_alu 0xfffe
	s_xor_b32 s0, s0, s24
	s_delay_alu instid0(SALU_CYCLE_1) | instskip(NEXT) | instid1(SALU_CYCLE_1)
	s_sub_co_i32 s0, s0, s24
	s_mul_i32 s1, s0, s1
	s_delay_alu instid0(SALU_CYCLE_1) | instskip(NEXT) | instid1(SALU_CYCLE_1)
	s_sub_co_i32 s1, s15, s1
	s_add_co_i32 s1, s1, s20
	s_delay_alu instid0(SALU_CYCLE_1)
	s_sub_co_i32 s23, s1, s25
.LBB7_10:
	s_wait_alu 0xfffe
	s_mov_b32 s15, s23
	s_mov_b32 s23, s0
.LBB7_11:
	v_lshrrev_b32_e32 v91, 3, v0
	s_wait_kmcnt 0x0
	s_mul_i32 s0, s3, s2
	s_ashr_i32 s26, s12, 31
	s_mul_i32 s20, s0, s5
	s_ashr_i32 s1, s0, 31
	v_dual_mov_b32 v58, 3 :: v_dual_and_b32 v53, 14, v91
	s_lshr_b32 s20, s20, 1
	s_lshl_b64 s[24:25], s[0:1], 1
	s_add_nc_u64 s[0:1], s[10:11], s[20:21]
	s_lshr_b32 s10, s26, 25
	v_lshl_or_b32 v1, s15, 4, v53
	s_add_co_i32 s10, s12, s10
	s_add_co_i32 s11, s4, 0x7fffffff
	s_ashr_i32 s26, s10, 7
	s_add_co_i32 s10, s14, -1
	v_mul_lo_u32 v54, v1, s7
	s_mul_i32 s14, s10, s3
	s_lshl_b32 s12, s5, 7
	s_wait_alu 0xfffe
	s_sub_co_i32 s6, s6, s14
	v_lshrrev_b32_e32 v92, 1, v0
	v_and_b32_e32 v2, 3, v0
	v_and_b32_e32 v103, 15, v0
	s_cmp_lt_u32 s2, s10
	s_mov_b32 s20, s7
	s_wait_alu 0xfffe
	s_cselect_b32 s14, s3, s6
	s_lshl_b32 s6, s23, 6
	v_lshlrev_b32_e32 v3, 5, v2
	s_wait_alu 0xfffe
	v_and_or_b32 v1, v92, 62, s6
	v_lshl_add_u32 v4, v103, 3, v54
	s_mov_b32 s10, s21
	s_add_nc_u64 s[8:9], s[8:9], s[24:25]
	s_mul_u64 s[2:3], s[10:11], s[20:21]
	v_lshl_or_b32 v1, v1, 7, v3
	v_lshlrev_b32_e32 v3, 1, v4
	s_add_co_i32 s14, s14, s3
	v_add_lshl_u32 v9, v4, s7, 1
	s_wait_alu 0xfffe
	s_lshl_b32 s10, s14, 1
	s_mov_b32 s11, 0x31004000
	s_and_b32 s9, s9, 0xffff
	s_clause 0x1
	buffer_load_b128 v[5:8], v3, s[8:11], null offen
	buffer_load_b128 v[41:44], v9, s[8:11], null offen
	v_ashrrev_i32_e32 v3, 1, v1
	v_add_nc_u32_e32 v9, 0x80, v4
	v_add_nc_u32_e32 v1, s12, v1
	s_mul_i32 s2, s5, s26
	s_and_b32 s1, s1, 0xffff
	s_lshl_b32 s2, s2, 6
	s_mov_b32 s3, s11
	s_clause 0x1
	buffer_load_b128 v[45:48], v3, s[0:3], null offen
	buffer_load_b128 v[49:52], v3, s[0:3], null offen offset:64
	v_lshlrev_b32_e32 v3, 1, v9
	v_add_nc_u32_e32 v55, s12, v1
	v_add_lshl_u32 v9, v9, s7, 1
	v_add_nc_u32_e32 v10, 0x80, v1
	v_add_nc_u32_e32 v4, 0x100, v4
	s_clause 0x1
	buffer_load_b128 v[21:24], v3, s[8:11], null offen
	buffer_load_b128 v[17:20], v9, s[8:11], null offen
	v_ashrrev_i32_e32 v1, 1, v1
	v_add_nc_u32_e32 v3, 0x80, v55
	v_ashrrev_i32_e32 v9, 1, v10
	v_lshlrev_b32_e32 v25, 1, v4
	v_add_lshl_u32 v4, v4, s7, 1
	v_ashrrev_i32_e32 v33, 1, v55
	v_ashrrev_i32_e32 v3, 1, v3
	s_clause 0x1
	buffer_load_b128 v[13:16], v1, s[0:3], null offen
	buffer_load_b128 v[9:12], v9, s[0:3], null offen
	s_clause 0x1
	buffer_load_b128 v[25:28], v25, s[8:11], null offen
	buffer_load_b128 v[29:32], v4, s[8:11], null offen
	;; [unrolled: 3-line block ×3, first 2 shown]
	v_dual_mov_b32 v1, 0 :: v_dual_lshlrev_b32 v4, 2, v0
	v_bfe_u32 v56, v0, 2, 3
	v_lshlrev_b32_e32 v57, 1, v2
	v_lshrrev_b32_e32 v3, 2, v0
	v_or_b32_e32 v104, 12, v2
	v_and_b32_e32 v60, 64, v4
	v_or_b32_e32 v105, 1, v91
	v_xor_b32_e32 v64, v57, v56
	v_or_b32_e32 v57, 1, v57
	v_mov_b32_e32 v2, v1
	v_lshrrev_b32_e32 v65, 3, v60
	v_lshrrev_b32_e32 v66, 5, v60
	;; [unrolled: 1-line block ×3, first 2 shown]
	v_or_b32_e32 v60, 32, v60
	v_and_or_b32 v61, v92, 48, v103
	v_xor_b32_e32 v56, v57, v56
	v_lshlrev_b32_e32 v59, 8, v3
	v_and_or_b32 v68, v0, 1, v68
	v_lshrrev_b32_e32 v72, 3, v60
	v_lshrrev_b32_e32 v60, 5, v60
	v_xor_b32_e32 v108, v53, v103
	v_lshlrev_b32_e32 v63, 7, v53
	v_lshrrev_b32_e32 v67, 1, v61
	v_bfe_u32 v61, v61, 1, 3
	v_sub_nc_u32_e32 v60, v60, v66
	v_or_b32_e32 v69, 1, v53
	v_sub_nc_u32_e32 v53, v105, v53
	v_sub_nc_u32_e32 v66, v56, v64
	;; [unrolled: 1-line block ×3, first 2 shown]
	v_lshl_add_u32 v60, v60, 1, v68
	v_lshlrev_b32_e32 v62, 8, v103
	v_lshl_or_b32 v107, v64, 5, v59
	v_xor_b32_e32 v59, v65, v103
	v_lshlrev_b32_e32 v67, 8, v67
	v_xor_b32_e32 v69, v69, v103
	v_or_b32_e32 v57, 1, v65
	v_or_b32_e32 v70, 2, v65
	;; [unrolled: 1-line block ×6, first 2 shown]
	v_lshlrev_b32_e32 v109, 7, v53
	v_add_nc_u32_e32 v110, -1, v53
	v_xor_b32_e32 v53, v61, v68
	v_lshlrev_b32_e32 v113, 5, v56
	v_xor_b32_e32 v56, v60, v61
	v_lshl_or_b32 v63, v108, 3, v63
	v_sub_nc_u32_e32 v76, v69, v108
	v_sub_nc_u32_e32 v69, v108, v69
	v_lshl_or_b32 v94, v59, 4, v62
	v_xor_b32_e32 v57, v57, v103
	v_xor_b32_e32 v62, v70, v103
	;; [unrolled: 1-line block ×7, first 2 shown]
	v_add_nc_u32_e32 v64, s7, v54
	v_lshlrev_b32_e32 v111, 1, v54
	v_lshl_or_b32 v54, v53, 5, v67
	v_lshlrev_b32_e32 v112, 5, v66
	v_sub_nc_u32_e32 v53, v56, v53
	v_lshlrev_b32_e32 v75, 1, v63
	s_ashr_i32 s14, s22, 31
	v_lshlrev_b32_e32 v67, 3, v76
	v_lshlrev_b32_e32 v68, 3, v69
	v_sub_nc_u32_e32 v57, v57, v59
	v_sub_nc_u32_e32 v62, v62, v59
	v_sub_nc_u32_e32 v66, v70, v59
	v_sub_nc_u32_e32 v70, v71, v59
	v_sub_nc_u32_e32 v71, v72, v59
	v_sub_nc_u32_e32 v72, v73, v59
	v_sub_nc_u32_e32 v59, v65, v59
	v_add_nc_u32_e32 v60, v112, v107
	v_lshl_add_u32 v53, v53, 5, v54
	v_lshl_add_u32 v69, v76, 4, v75
	s_wait_alu 0xfffe
	s_lshr_b32 s14, s14, 28
	v_lshrrev_b32_e32 v77, 1, v107
	s_wait_alu 0xfffe
	s_add_co_i32 s22, s22, s14
	v_dual_mov_b32 v3, v1 :: v_dual_lshlrev_b32 v106, 4, v103
	v_mov_b32_e32 v4, v1
	v_lshl_add_u32 v114, v64, 1, 0x500
	v_add3_u32 v61, v67, v63, v68
	v_lshl_add_u32 v95, v57, 4, v94
	v_lshl_add_u32 v96, v62, 4, v94
	;; [unrolled: 1-line block ×7, first 2 shown]
	v_lshrrev_b32_e32 v102, 1, v54
	v_add_nc_u32_e32 v57, s12, v55
	v_ashrrev_i32_e32 v54, 1, v60
	v_ashrrev_i32_e32 v93, 1, v53
	s_wait_alu 0xfffe
	s_ashr_i32 s14, s22, 4
	s_wait_loadcnt 0xb
	ds_store_b128 v75, v[5:8]
	s_wait_loadcnt 0xa
	ds_store_b128 v69, v[41:44] offset:256
	s_wait_loadcnt 0x9
	ds_store_b128 v77, v[45:48] offset:4096
	v_dual_mov_b32 v5, v1 :: v_dual_mov_b32 v6, v1
	v_dual_mov_b32 v7, v1 :: v_dual_mov_b32 v8, v1
	s_wait_alu 0xfffe
	s_add_co_i32 s7, s14, -3
	s_wait_loadcnt 0x8
	ds_store_b128 v54, v[49:52] offset:4096
.LBB7_12:                               ; =>This Inner Loop Header: Depth=1
	s_wait_dscnt 0x0
	s_barrier_signal -1
	s_barrier_wait -1
	ds_load_b128 v[49:52], v102 offset:4096
	ds_load_b128 v[53:56], v94
	ds_load_b128 v[62:65], v95
	;; [unrolled: 1-line block ×8, first 2 shown]
	ds_load_b128 v[82:85], v93 offset:4096
	s_wait_dscnt 0x9
	v_lshrrev_b32_e32 v60, 4, v49
	v_and_or_b32 v59, v49, 15, 0x4b000000
	v_lshrrev_b32_e32 v86, 8, v49
	v_lshrrev_b32_e32 v87, 12, v49
	v_ashrrev_i32_e32 v49, 16, v49
	v_and_or_b32 v60, v60, 15, 0x4b000000
	v_add_f32_e32 v59, 0xcb000008, v59
	v_and_or_b32 v86, v86, 15, 0x4b000000
	v_and_or_b32 v87, v87, 15, 0x4b000000
	v_lshrrev_b32_e32 v88, 4, v49
	v_and_or_b32 v116, v49, 15, 0x4b000000
	v_lshrrev_b32_e32 v117, 8, v49
	v_lshrrev_b32_e32 v49, 12, v49
	v_add_f32_e32 v60, 0xcb000008, v60
	v_and_or_b32 v88, v88, 15, 0x4b000000
	v_lshrrev_b32_e32 v89, 4, v50
	v_lshrrev_b32_e32 v90, 8, v50
	v_and_or_b32 v49, v49, 15, 0x4b000000
	v_add_f32_e32 v118, 0xcb000008, v86
	v_add_f32_e32 v86, 0xcb000008, v87
	v_lshrrev_b32_e32 v60, 16, v60
	v_lshrrev_b32_e32 v115, 12, v50
	v_and_or_b32 v87, v117, 15, 0x4b000000
	v_add_f32_e32 v88, 0xcb000008, v88
	v_lshrrev_b32_e32 v117, 16, v86
	v_and_or_b32 v86, 0xffff0000, v59, v60
	v_and_or_b32 v59, v50, 15, 0x4b000000
	v_ashrrev_i32_e32 v50, 16, v50
	v_dual_add_f32 v116, 0xcb000008, v116 :: v_dual_add_f32 v49, 0xcb000008, v49
	v_add_f32_e32 v119, 0xcb000008, v87
	v_lshrrev_b32_e32 v88, 16, v88
	v_and_or_b32 v60, v89, 15, 0x4b000000
	v_and_or_b32 v89, v90, 15, 0x4b000000
	;; [unrolled: 1-line block ×3, first 2 shown]
	v_lshrrev_b32_e32 v115, 4, v50
	v_and_or_b32 v87, 0xffff0000, v118, v117
	v_lshrrev_b32_e32 v49, 16, v49
	v_add_f32_e32 v59, 0xcb000008, v59
	v_and_or_b32 v88, 0xffff0000, v116, v88
	v_add_f32_e32 v60, 0xcb000008, v60
	v_lshrrev_b32_e32 v116, 12, v50
	v_add_f32_e32 v117, 0xcb000008, v89
	v_add_f32_e32 v89, 0xcb000008, v90
	v_and_or_b32 v115, v115, 15, 0x4b000000
	v_lshrrev_b32_e32 v90, 8, v50
	v_and_or_b32 v116, v116, 15, 0x4b000000
	v_and_or_b32 v50, v50, 15, 0x4b000000
	v_lshrrev_b32_e32 v118, 16, v89
	v_add_f32_e32 v115, 0xcb000008, v115
	v_and_or_b32 v89, 0xffff0000, v119, v49
	v_lshrrev_b32_e32 v49, 4, v51
	v_lshrrev_b32_e32 v60, 16, v60
	v_add_f32_e32 v116, 0xcb000008, v116
	v_lshrrev_b32_e32 v120, 16, v115
	v_and_or_b32 v90, v90, 15, 0x4b000000
	v_and_or_b32 v49, v49, 15, 0x4b000000
	v_add_f32_e32 v50, 0xcb000008, v50
	v_lshrrev_b32_e32 v121, 16, v116
	v_and_or_b32 v115, 0xffff0000, v59, v60
	v_and_or_b32 v116, 0xffff0000, v117, v118
	v_lshrrev_b32_e32 v59, 12, v51
	v_and_or_b32 v60, v51, 15, 0x4b000000
	v_add_f32_e32 v49, 0xcb000008, v49
	v_and_or_b32 v117, 0xffff0000, v50, v120
	v_lshrrev_b32_e32 v50, 8, v51
	v_ashrrev_i32_e32 v51, 16, v51
	v_and_or_b32 v59, v59, 15, 0x4b000000
	v_add_f32_e32 v90, 0xcb000008, v90
	v_lshrrev_b32_e32 v49, 16, v49
	v_and_or_b32 v50, v50, 15, 0x4b000000
	v_lshrrev_b32_e32 v119, 12, v51
	v_add_f32_e32 v59, 0xcb000008, v59
	v_and_or_b32 v118, 0xffff0000, v90, v121
	v_lshrrev_b32_e32 v90, 4, v51
	v_lshrrev_b32_e32 v120, 8, v51
	v_and_or_b32 v119, v119, 15, 0x4b000000
	v_add_f32_e32 v60, 0xcb000008, v60
	v_and_or_b32 v51, v51, 15, 0x4b000000
	v_and_or_b32 v90, v90, 15, 0x4b000000
	s_delay_alu instid0(VALU_DEP_4) | instskip(SKIP_1) | instid1(VALU_DEP_4)
	v_dual_add_f32 v50, 0xcb000008, v50 :: v_dual_add_f32 v119, 0xcb000008, v119
	v_and_or_b32 v120, v120, 15, 0x4b000000
	v_add_f32_e32 v51, 0xcb000008, v51
	v_lshrrev_b32_e32 v59, 16, v59
	s_wait_dscnt 0x0
	v_and_or_b32 v124, v82, 15, 0x4b000000
	v_lshrrev_b32_e32 v123, 16, v119
	v_and_or_b32 v119, 0xffff0000, v60, v49
	v_lshrrev_b32_e32 v49, 4, v52
	s_delay_alu instid0(VALU_DEP_1) | instskip(NEXT) | instid1(VALU_DEP_1)
	v_and_or_b32 v49, v49, 15, 0x4b000000
	v_dual_add_f32 v90, 0xcb000008, v90 :: v_dual_add_f32 v49, 0xcb000008, v49
	s_delay_alu instid0(VALU_DEP_1) | instskip(NEXT) | instid1(VALU_DEP_2)
	v_lshrrev_b32_e32 v90, 16, v90
	v_lshrrev_b32_e32 v49, 16, v49
	s_delay_alu instid0(VALU_DEP_2) | instskip(SKIP_1) | instid1(VALU_DEP_1)
	v_and_or_b32 v121, 0xffff0000, v51, v90
	v_lshrrev_b32_e32 v51, 12, v52
	v_and_or_b32 v51, v51, 15, 0x4b000000
	v_add_f32_e32 v122, 0xcb000008, v120
	v_and_or_b32 v120, 0xffff0000, v50, v59
	v_ashrrev_i32_e32 v59, 16, v52
	v_lshrrev_b32_e32 v50, 8, v52
	v_and_or_b32 v52, v52, 15, 0x4b000000
	v_add_f32_e32 v51, 0xcb000008, v51
	v_and_or_b32 v122, 0xffff0000, v122, v123
	v_lshrrev_b32_e32 v90, 12, v59
	v_lshrrev_b32_e32 v123, 8, v59
	;; [unrolled: 1-line block ×3, first 2 shown]
	v_and_or_b32 v59, v59, 15, 0x4b000000
	v_add_f32_e32 v52, 0xcb000008, v52
	v_and_or_b32 v90, v90, 15, 0x4b000000
	v_and_or_b32 v123, v123, 15, 0x4b000000
	;; [unrolled: 1-line block ×3, first 2 shown]
	v_add_f32_e32 v59, 0xcb000008, v59
	v_and_or_b32 v49, 0xffff0000, v52, v49
	v_add_f32_e32 v52, 0xcb000008, v90
	v_add_f32_e32 v90, 0xcb000008, v123
	v_lshrrev_b32_e32 v123, 12, v82
	v_and_or_b32 v50, v50, 15, 0x4b000000
	v_lshrrev_b32_e32 v51, 16, v51
	s_delay_alu instid0(VALU_DEP_3) | instskip(SKIP_1) | instid1(VALU_DEP_2)
	v_and_or_b32 v123, v123, 15, 0x4b000000
	v_add_f32_e32 v60, 0xcb000008, v60
	v_dual_add_f32 v50, 0xcb000008, v50 :: v_dual_add_f32 v123, 0xcb000008, v123
	s_delay_alu instid0(VALU_DEP_2) | instskip(NEXT) | instid1(VALU_DEP_2)
	v_lshrrev_b32_e32 v60, 16, v60
	v_and_or_b32 v50, 0xffff0000, v50, v51
	s_delay_alu instid0(VALU_DEP_3) | instskip(NEXT) | instid1(VALU_DEP_3)
	v_lshrrev_b32_e32 v128, 16, v123
	v_and_or_b32 v51, 0xffff0000, v59, v60
	v_lshrrev_b32_e32 v59, 4, v82
	v_lshrrev_b32_e32 v60, 8, v82
	v_ashrrev_i32_e32 v82, 16, v82
	s_delay_alu instid0(VALU_DEP_3) | instskip(NEXT) | instid1(VALU_DEP_3)
	v_and_or_b32 v59, v59, 15, 0x4b000000
	v_and_or_b32 v60, v60, 15, 0x4b000000
	s_delay_alu instid0(VALU_DEP_3)
	v_lshrrev_b32_e32 v125, 4, v82
	v_lshrrev_b32_e32 v127, 8, v82
	;; [unrolled: 1-line block ×3, first 2 shown]
	v_add_f32_e32 v59, 0xcb000008, v59
	v_and_or_b32 v82, v82, 15, 0x4b000000
	v_and_or_b32 v125, v125, 15, 0x4b000000
	;; [unrolled: 1-line block ×3, first 2 shown]
	v_add_f32_e32 v124, 0xcb000008, v124
	v_lshrrev_b32_e32 v59, 16, v59
	v_and_or_b32 v126, v126, 15, 0x4b000000
	v_add_f32_e32 v125, 0xcb000008, v125
	v_add_f32_e32 v127, 0xcb000008, v127
	v_lshrrev_b32_e32 v52, 16, v52
	v_and_or_b32 v123, 0xffff0000, v124, v59
	v_lshrrev_b32_e32 v59, 4, v83
	v_add_f32_e32 v126, 0xcb000008, v126
	v_add_f32_e32 v82, 0xcb000008, v82
	v_lshrrev_b32_e32 v125, 16, v125
	v_and_or_b32 v52, 0xffff0000, v90, v52
	v_and_or_b32 v59, v59, 15, 0x4b000000
	v_add_f32_e32 v60, 0xcb000008, v60
	v_lshrrev_b32_e32 v126, 16, v126
	v_and_or_b32 v125, 0xffff0000, v82, v125
	v_lshrrev_b32_e32 v82, 12, v83
	v_and_or_b32 v90, v83, 15, 0x4b000000
	v_add_f32_e32 v59, 0xcb000008, v59
	v_and_or_b32 v124, 0xffff0000, v60, v128
	v_lshrrev_b32_e32 v60, 8, v83
	v_ashrrev_i32_e32 v83, 16, v83
	v_and_or_b32 v126, 0xffff0000, v127, v126
	v_and_or_b32 v82, v82, 15, 0x4b000000
	v_add_f32_e32 v90, 0xcb000008, v90
	v_and_or_b32 v60, v60, 15, 0x4b000000
	v_lshrrev_b32_e32 v127, 4, v83
	v_lshrrev_b32_e32 v128, 12, v83
	;; [unrolled: 1-line block ×3, first 2 shown]
	v_and_or_b32 v83, v83, 15, 0x4b000000
	v_add_f32_e32 v82, 0xcb000008, v82
	v_and_or_b32 v127, v127, 15, 0x4b000000
	v_and_or_b32 v128, v128, 15, 0x4b000000
	v_and_or_b32 v129, v129, 15, 0x4b000000
	v_add_f32_e32 v83, 0xcb000008, v83
	v_lshrrev_b32_e32 v59, 16, v59
	s_delay_alu instid0(VALU_DEP_4) | instskip(NEXT) | instid1(VALU_DEP_4)
	v_dual_add_f32 v127, 0xcb000008, v127 :: v_dual_add_f32 v128, 0xcb000008, v128
	v_add_f32_e32 v131, 0xcb000008, v129
	v_lshrrev_b32_e32 v82, 16, v82
	s_delay_alu instid0(VALU_DEP_3) | instskip(NEXT) | instid1(VALU_DEP_4)
	v_lshrrev_b32_e32 v130, 16, v127
	v_lshrrev_b32_e32 v132, 16, v128
	v_and_or_b32 v127, 0xffff0000, v90, v59
	v_lshrrev_b32_e32 v59, 4, v84
	s_delay_alu instid0(VALU_DEP_4) | instskip(SKIP_2) | instid1(VALU_DEP_4)
	v_and_or_b32 v129, 0xffff0000, v83, v130
	v_ashrrev_i32_e32 v83, 16, v84
	v_and_or_b32 v130, 0xffff0000, v131, v132
	v_and_or_b32 v59, v59, 15, 0x4b000000
	s_delay_alu instid0(VALU_DEP_3) | instskip(SKIP_1) | instid1(VALU_DEP_3)
	v_lshrrev_b32_e32 v131, 12, v83
	v_lshrrev_b32_e32 v90, 4, v83
	v_add_f32_e32 v59, 0xcb000008, v59
	v_lshrrev_b32_e32 v132, 8, v83
	v_and_or_b32 v83, v83, 15, 0x4b000000
	v_and_or_b32 v131, v131, 15, 0x4b000000
	v_add_f32_e32 v60, 0xcb000008, v60
	v_and_or_b32 v90, v90, 15, 0x4b000000
	v_lshrrev_b32_e32 v59, 16, v59
	v_and_or_b32 v132, v132, 15, 0x4b000000
	v_add_f32_e32 v134, 0xcb000008, v83
	v_and_or_b32 v128, 0xffff0000, v60, v82
	v_lshrrev_b32_e32 v82, 12, v84
	v_lshrrev_b32_e32 v60, 8, v84
	v_and_or_b32 v84, v84, 15, 0x4b000000
	v_add_f32_e32 v90, 0xcb000008, v90
	s_delay_alu instid0(VALU_DEP_4) | instskip(NEXT) | instid1(VALU_DEP_4)
	v_and_or_b32 v82, v82, 15, 0x4b000000
	v_and_or_b32 v60, v60, 15, 0x4b000000
	s_delay_alu instid0(VALU_DEP_4) | instskip(NEXT) | instid1(VALU_DEP_4)
	v_add_f32_e32 v84, 0xcb000008, v84
	v_lshrrev_b32_e32 v90, 16, v90
	s_delay_alu instid0(VALU_DEP_4) | instskip(NEXT) | instid1(VALU_DEP_4)
	v_add_f32_e32 v82, 0xcb000008, v82
	v_add_f32_e32 v60, 0xcb000008, v60
	s_delay_alu instid0(VALU_DEP_2)
	v_lshrrev_b32_e32 v133, 16, v82
	v_and_or_b32 v82, 0xffff0000, v84, v59
	v_add_f32_e32 v59, 0xcb000008, v131
	v_and_or_b32 v84, 0xffff0000, v134, v90
	v_lshrrev_b32_e32 v90, 4, v85
	v_and_or_b32 v83, 0xffff0000, v60, v133
	v_add_f32_e32 v60, 0xcb000008, v132
	v_lshrrev_b32_e32 v131, 8, v85
	v_lshrrev_b32_e32 v132, 12, v85
	v_and_or_b32 v133, v85, 15, 0x4b000000
	v_ashrrev_i32_e32 v85, 16, v85
	v_and_or_b32 v90, v90, 15, 0x4b000000
	v_and_or_b32 v131, v131, 15, 0x4b000000
	v_and_or_b32 v132, v132, 15, 0x4b000000
	v_lshrrev_b32_e32 v59, 16, v59
	v_lshrrev_b32_e32 v134, 4, v85
	;; [unrolled: 1-line block ×3, first 2 shown]
	s_delay_alu instid0(VALU_DEP_4) | instskip(SKIP_1) | instid1(VALU_DEP_4)
	v_dual_add_f32 v136, 0xcb000008, v131 :: v_dual_add_f32 v131, 0xcb000008, v132
	v_lshrrev_b32_e32 v132, 8, v85
	v_and_or_b32 v134, v134, 15, 0x4b000000
	s_delay_alu instid0(VALU_DEP_4) | instskip(SKIP_3) | instid1(VALU_DEP_4)
	v_and_or_b32 v135, v135, 15, 0x4b000000
	v_add_f32_e32 v90, 0xcb000008, v90
	v_and_or_b32 v85, v85, 15, 0x4b000000
	v_and_or_b32 v132, v132, 15, 0x4b000000
	v_dual_add_f32 v134, 0xcb000008, v134 :: v_dual_add_f32 v135, 0xcb000008, v135
	v_add_f32_e32 v133, 0xcb000008, v133
	v_lshrrev_b32_e32 v90, 16, v90
	v_lshrrev_b32_e32 v137, 16, v131
	v_dual_add_f32 v138, 0xcb000008, v85 :: v_dual_add_f32 v139, 0xcb000008, v132
	v_lshrrev_b32_e32 v134, 16, v134
	v_lshrrev_b32_e32 v135, 16, v135
	v_and_or_b32 v85, 0xffff0000, v60, v59
	v_and_or_b32 v131, 0xffff0000, v133, v90
	;; [unrolled: 1-line block ×5, first 2 shown]
	; sched_barrier mask(0x00000000)
	s_barrier_signal -1
	s_barrier_wait -1
	; sched_barrier mask(0x00000000)
	v_wmma_f32_16x16x16_bf16 v[1:8], v[86:89], v[53:56], v[1:8]
	s_delay_alu instid0(VALU_DEP_1) | instskip(NEXT) | instid1(VALU_DEP_1)
	v_wmma_f32_16x16x16_bf16 v[1:8], v[115:118], v[62:65], v[1:8]
	v_wmma_f32_16x16x16_bf16 v[1:8], v[119:122], v[66:69], v[1:8]
	s_delay_alu instid0(VALU_DEP_1)
	v_wmma_f32_16x16x16_bf16 v[1:8], v[49:52], v[70:73], v[1:8]
	; sched_barrier mask(0x00000000)
	s_setprio 1
	; sched_barrier mask(0x00000000)
	; sched_barrier mask(0x00000000)
	s_wait_dscnt 0x0
	s_barrier_signal -1
	s_barrier_wait -1
	; sched_barrier mask(0x00000000)
	v_wmma_f32_16x16x16_bf16 v[1:8], v[123:126], v[74:77], v[1:8]
	s_delay_alu instid0(VALU_DEP_1) | instskip(NEXT) | instid1(VALU_DEP_1)
	v_wmma_f32_16x16x16_bf16 v[1:8], v[127:130], v[78:81], v[1:8]
	v_wmma_f32_16x16x16_bf16 v[1:8], v[82:85], v[45:48], v[1:8]
	s_delay_alu instid0(VALU_DEP_1)
	v_wmma_f32_16x16x16_bf16 v[1:8], v[131:134], v[41:44], v[1:8]
	; sched_barrier mask(0x00000000)
	s_setprio 0
	; sched_barrier mask(0x00000000)
	v_lshlrev_b32_e32 v41, 1, v61
	v_add_nc_u32_e32 v118, v106, v114
	v_add_nc_u32_e32 v117, v106, v111
	v_add_nc_u32_e64 v122, 4, s21
	s_wait_loadcnt 0x7
	ds_store_b128 v41, v[21:24]
	v_ashrrev_i32_e32 v21, 31, v105
	buffer_load_b128 v[41:44], v117, s[8:11], null offen offset:768
	v_lshrrev_b32_e32 v21, 28, v21
	s_delay_alu instid0(VALU_DEP_1) | instskip(NEXT) | instid1(VALU_DEP_1)
	v_add_nc_u32_e32 v21, v105, v21
	v_and_b32_e32 v21, -16, v21
	s_delay_alu instid0(VALU_DEP_1) | instskip(NEXT) | instid1(VALU_DEP_1)
	v_sub_nc_u32_e32 v21, v105, v21
	v_xor_b32_e32 v121, v21, v103
	s_delay_alu instid0(VALU_DEP_1) | instskip(NEXT) | instid1(VALU_DEP_1)
	v_sub_nc_u32_e32 v21, v121, v108
	v_lshlrev_b32_e32 v21, 3, v21
	s_delay_alu instid0(VALU_DEP_1) | instskip(NEXT) | instid1(VALU_DEP_1)
	v_add3_u32 v21, v61, v109, v21
	v_lshlrev_b32_e32 v120, 1, v21
	s_wait_loadcnt 0x7
	ds_store_b128 v120, v[17:20]
	v_add_nc_u32_e32 v17, -1, v105
	s_delay_alu instid0(VALU_DEP_1) | instskip(NEXT) | instid1(VALU_DEP_1)
	v_ashrrev_i32_e32 v18, 31, v17
	v_lshrrev_b32_e32 v18, 28, v18
	s_delay_alu instid0(VALU_DEP_1) | instskip(NEXT) | instid1(VALU_DEP_1)
	v_add_nc_u32_e32 v18, v17, v18
	v_and_b32_e32 v18, -16, v18
	s_delay_alu instid0(VALU_DEP_1) | instskip(NEXT) | instid1(VALU_DEP_1)
	v_sub_nc_u32_e32 v17, v17, v18
	v_xor_b32_e32 v108, v17, v103
	s_delay_alu instid0(VALU_DEP_1) | instskip(NEXT) | instid1(VALU_DEP_1)
	v_sub_nc_u32_e32 v17, v108, v121
	v_lshl_add_u32 v115, v17, 3, 0xffffff80
	v_lshrrev_b32_e32 v17, 31, v107
	s_delay_alu instid0(VALU_DEP_2) | instskip(NEXT) | instid1(VALU_DEP_2)
	v_add_nc_u32_e32 v119, v115, v21
	v_add_nc_u32_e32 v17, v107, v17
	s_delay_alu instid0(VALU_DEP_1) | instskip(SKIP_3) | instid1(VALU_DEP_1)
	v_ashrrev_i32_e32 v17, 1, v17
	s_wait_loadcnt 0x6
	ds_store_b128 v17, v[13:16] offset:4096
	v_add_nc_u32_e32 v13, v107, v112
	v_lshrrev_b32_e32 v14, 31, v13
	v_add_nc_u32_e32 v107, v13, v113
	s_delay_alu instid0(VALU_DEP_2) | instskip(NEXT) | instid1(VALU_DEP_1)
	v_add_nc_u32_e32 v14, v13, v14
	v_ashrrev_i32_e32 v116, 1, v14
	s_wait_loadcnt 0x5
	ds_store_b128 v116, v[9:12] offset:4096
	v_add_nc_u32_e32 v9, 0xfffffe00, v118
	buffer_load_b128 v[45:48], v9, s[8:11], null offen
	v_lshrrev_b32_e32 v9, 31, v57
	s_delay_alu instid0(VALU_DEP_1) | instskip(NEXT) | instid1(VALU_DEP_1)
	v_add_nc_u32_e32 v9, v57, v9
	v_ashrrev_i32_e32 v9, 1, v9
	buffer_load_b128 v[49:52], v9, s[0:3], null offen
	v_add_nc_u32_e32 v9, 0x80, v57
	s_delay_alu instid0(VALU_DEP_1) | instskip(NEXT) | instid1(VALU_DEP_1)
	v_lshrrev_b32_e32 v10, 31, v9
	v_add_nc_u32_e32 v9, v9, v10
	s_delay_alu instid0(VALU_DEP_1)
	v_ashrrev_i32_e32 v9, 1, v9
	buffer_load_b128 v[53:56], v9, s[0:3], null offen
	v_sub_nc_u32_e32 v9, v122, v58
	s_wait_dscnt 0x0
	s_barrier_signal -1
	s_barrier_wait -1
	s_delay_alu instid0(VALU_DEP_1)
	v_mad_co_u64_u32 v[89:90], null, v9, s12, v[57:58]
	ds_load_b128 v[69:72], v94
	ds_load_b128 v[65:68], v95
	;; [unrolled: 1-line block ×8, first 2 shown]
	ds_load_b128 v[84:87], v102 offset:4096
	s_wait_dscnt 0x0
	v_lshrrev_b32_e32 v74, 4, v84
	v_lshrrev_b32_e32 v76, 12, v84
	v_and_or_b32 v73, v84, 15, 0x4b000000
	v_lshrrev_b32_e32 v75, 8, v84
	v_lshrrev_b32_e32 v80, 12, v85
	v_and_or_b32 v74, v74, 15, 0x4b000000
	v_and_or_b32 v76, v76, 15, 0x4b000000
	v_add_f32_e32 v73, 0xcb000008, v73
	v_and_or_b32 v75, v75, 15, 0x4b000000
	v_and_or_b32 v80, v80, 15, 0x4b000000
	v_add_f32_e32 v74, 0xcb000008, v74
	v_add_f32_e32 v76, 0xcb000008, v76
	v_lshrrev_b32_e32 v90, 12, v87
	s_delay_alu instid0(VALU_DEP_4) | instskip(NEXT) | instid1(VALU_DEP_4)
	v_dual_add_f32 v75, 0xcb000008, v75 :: v_dual_add_f32 v80, 0xcb000008, v80
	v_lshrrev_b32_e32 v74, 16, v74
	s_delay_alu instid0(VALU_DEP_3) | instskip(NEXT) | instid1(VALU_DEP_2)
	v_and_or_b32 v90, v90, 15, 0x4b000000
	v_and_or_b32 v73, 0xffff0000, v73, v74
	v_lshrrev_b32_e32 v74, 16, v76
	s_delay_alu instid0(VALU_DEP_3) | instskip(NEXT) | instid1(VALU_DEP_2)
	v_add_f32_e32 v90, 0xcb000008, v90
	v_and_or_b32 v74, 0xffff0000, v75, v74
	v_ashrrev_i32_e32 v75, 16, v84
	v_lshrrev_b32_e32 v84, 12, v86
	s_delay_alu instid0(VALU_DEP_2)
	v_lshrrev_b32_e32 v77, 4, v75
	v_and_or_b32 v76, v75, 15, 0x4b000000
	v_lshrrev_b32_e32 v78, 8, v75
	v_lshrrev_b32_e32 v75, 12, v75
	v_and_or_b32 v84, v84, 15, 0x4b000000
	v_and_or_b32 v77, v77, 15, 0x4b000000
	v_add_f32_e32 v76, 0xcb000008, v76
	v_and_or_b32 v78, v78, 15, 0x4b000000
	v_and_or_b32 v75, v75, 15, 0x4b000000
	s_delay_alu instid0(VALU_DEP_4) | instskip(NEXT) | instid1(VALU_DEP_2)
	v_dual_add_f32 v84, 0xcb000008, v84 :: v_dual_add_f32 v77, 0xcb000008, v77
	v_dual_add_f32 v78, 0xcb000008, v78 :: v_dual_add_f32 v79, 0xcb000008, v75
	s_delay_alu instid0(VALU_DEP_2) | instskip(SKIP_1) | instid1(VALU_DEP_2)
	v_lshrrev_b32_e32 v75, 16, v77
	v_and_or_b32 v77, v85, 15, 0x4b000000
	v_and_or_b32 v75, 0xffff0000, v76, v75
	s_delay_alu instid0(VALU_DEP_4) | instskip(SKIP_1) | instid1(VALU_DEP_4)
	v_lshrrev_b32_e32 v76, 16, v79
	v_lshrrev_b32_e32 v79, 8, v85
	v_add_f32_e32 v77, 0xcb000008, v77
	s_delay_alu instid0(VALU_DEP_3) | instskip(SKIP_1) | instid1(VALU_DEP_4)
	v_and_or_b32 v76, 0xffff0000, v78, v76
	v_lshrrev_b32_e32 v78, 4, v85
	v_and_or_b32 v79, v79, 15, 0x4b000000
	s_delay_alu instid0(VALU_DEP_2) | instskip(NEXT) | instid1(VALU_DEP_1)
	v_and_or_b32 v78, v78, 15, 0x4b000000
	v_dual_add_f32 v79, 0xcb000008, v79 :: v_dual_add_f32 v78, 0xcb000008, v78
	s_delay_alu instid0(VALU_DEP_1) | instskip(NEXT) | instid1(VALU_DEP_1)
	v_lshrrev_b32_e32 v78, 16, v78
	v_and_or_b32 v77, 0xffff0000, v77, v78
	v_lshrrev_b32_e32 v78, 16, v80
	s_delay_alu instid0(VALU_DEP_1) | instskip(SKIP_1) | instid1(VALU_DEP_1)
	v_and_or_b32 v78, 0xffff0000, v79, v78
	v_ashrrev_i32_e32 v79, 16, v85
	v_lshrrev_b32_e32 v81, 4, v79
	v_and_or_b32 v80, v79, 15, 0x4b000000
	v_lshrrev_b32_e32 v82, 8, v79
	v_lshrrev_b32_e32 v79, 12, v79
	s_delay_alu instid0(VALU_DEP_4) | instskip(NEXT) | instid1(VALU_DEP_4)
	v_and_or_b32 v81, v81, 15, 0x4b000000
	v_add_f32_e32 v80, 0xcb000008, v80
	s_delay_alu instid0(VALU_DEP_4) | instskip(NEXT) | instid1(VALU_DEP_4)
	v_and_or_b32 v82, v82, 15, 0x4b000000
	v_and_or_b32 v79, v79, 15, 0x4b000000
	s_delay_alu instid0(VALU_DEP_2) | instskip(NEXT) | instid1(VALU_DEP_2)
	v_dual_add_f32 v81, 0xcb000008, v81 :: v_dual_add_f32 v82, 0xcb000008, v82
	v_add_f32_e32 v83, 0xcb000008, v79
	s_delay_alu instid0(VALU_DEP_2) | instskip(SKIP_1) | instid1(VALU_DEP_2)
	v_lshrrev_b32_e32 v79, 16, v81
	v_and_or_b32 v81, v86, 15, 0x4b000000
	v_and_or_b32 v79, 0xffff0000, v80, v79
	s_delay_alu instid0(VALU_DEP_4) | instskip(SKIP_1) | instid1(VALU_DEP_4)
	v_lshrrev_b32_e32 v80, 16, v83
	v_lshrrev_b32_e32 v83, 8, v86
	v_add_f32_e32 v81, 0xcb000008, v81
	s_delay_alu instid0(VALU_DEP_3) | instskip(SKIP_1) | instid1(VALU_DEP_4)
	v_and_or_b32 v80, 0xffff0000, v82, v80
	v_lshrrev_b32_e32 v82, 4, v86
	v_and_or_b32 v83, v83, 15, 0x4b000000
	s_delay_alu instid0(VALU_DEP_2) | instskip(NEXT) | instid1(VALU_DEP_1)
	v_and_or_b32 v82, v82, 15, 0x4b000000
	v_dual_add_f32 v83, 0xcb000008, v83 :: v_dual_add_f32 v82, 0xcb000008, v82
	s_delay_alu instid0(VALU_DEP_1) | instskip(NEXT) | instid1(VALU_DEP_1)
	v_lshrrev_b32_e32 v82, 16, v82
	v_and_or_b32 v81, 0xffff0000, v81, v82
	v_lshrrev_b32_e32 v82, 16, v84
	s_delay_alu instid0(VALU_DEP_1) | instskip(SKIP_1) | instid1(VALU_DEP_1)
	v_and_or_b32 v82, 0xffff0000, v83, v82
	v_ashrrev_i32_e32 v83, 16, v86
	v_lshrrev_b32_e32 v85, 4, v83
	v_and_or_b32 v84, v83, 15, 0x4b000000
	v_lshrrev_b32_e32 v86, 8, v83
	v_lshrrev_b32_e32 v83, 12, v83
	s_delay_alu instid0(VALU_DEP_4) | instskip(NEXT) | instid1(VALU_DEP_4)
	v_and_or_b32 v85, v85, 15, 0x4b000000
	v_add_f32_e32 v84, 0xcb000008, v84
	s_delay_alu instid0(VALU_DEP_4) | instskip(NEXT) | instid1(VALU_DEP_4)
	v_and_or_b32 v86, v86, 15, 0x4b000000
	v_and_or_b32 v83, v83, 15, 0x4b000000
	s_delay_alu instid0(VALU_DEP_2) | instskip(NEXT) | instid1(VALU_DEP_2)
	v_dual_add_f32 v85, 0xcb000008, v85 :: v_dual_add_f32 v86, 0xcb000008, v86
	v_add_f32_e32 v88, 0xcb000008, v83
	s_delay_alu instid0(VALU_DEP_2) | instskip(SKIP_1) | instid1(VALU_DEP_2)
	v_lshrrev_b32_e32 v83, 16, v85
	v_and_or_b32 v85, v87, 15, 0x4b000000
	v_and_or_b32 v83, 0xffff0000, v84, v83
	s_delay_alu instid0(VALU_DEP_4) | instskip(SKIP_1) | instid1(VALU_DEP_4)
	v_lshrrev_b32_e32 v84, 16, v88
	v_lshrrev_b32_e32 v88, 8, v87
	v_add_f32_e32 v85, 0xcb000008, v85
	s_delay_alu instid0(VALU_DEP_3) | instskip(SKIP_1) | instid1(VALU_DEP_4)
	v_and_or_b32 v84, 0xffff0000, v86, v84
	v_lshrrev_b32_e32 v86, 4, v87
	v_and_or_b32 v88, v88, 15, 0x4b000000
	v_ashrrev_i32_e32 v87, 16, v87
	s_delay_alu instid0(VALU_DEP_3) | instskip(NEXT) | instid1(VALU_DEP_3)
	v_and_or_b32 v86, v86, 15, 0x4b000000
	v_add_f32_e32 v88, 0xcb000008, v88
	s_delay_alu instid0(VALU_DEP_3) | instskip(NEXT) | instid1(VALU_DEP_3)
	v_lshrrev_b32_e32 v123, 8, v87
	v_add_f32_e32 v86, 0xcb000008, v86
	s_delay_alu instid0(VALU_DEP_2) | instskip(NEXT) | instid1(VALU_DEP_2)
	v_and_or_b32 v123, v123, 15, 0x4b000000
	v_lshrrev_b32_e32 v86, 16, v86
	s_delay_alu instid0(VALU_DEP_2) | instskip(NEXT) | instid1(VALU_DEP_2)
	v_add_f32_e32 v123, 0xcb000008, v123
	v_and_or_b32 v85, 0xffff0000, v85, v86
	v_lshrrev_b32_e32 v86, 16, v90
	v_lshrrev_b32_e32 v90, 4, v87
	s_delay_alu instid0(VALU_DEP_2) | instskip(SKIP_1) | instid1(VALU_DEP_3)
	v_and_or_b32 v86, 0xffff0000, v88, v86
	v_and_or_b32 v88, v87, 15, 0x4b000000
	;; [unrolled: 1-line block ×3, first 2 shown]
	v_lshrrev_b32_e32 v87, 12, v87
	s_delay_alu instid0(VALU_DEP_3) | instskip(NEXT) | instid1(VALU_DEP_3)
	v_add_f32_e32 v88, 0xcb000008, v88
	v_add_f32_e32 v90, 0xcb000008, v90
	s_delay_alu instid0(VALU_DEP_3) | instskip(NEXT) | instid1(VALU_DEP_1)
	v_and_or_b32 v87, v87, 15, 0x4b000000
	v_add_f32_e32 v124, 0xcb000008, v87
	s_delay_alu instid0(VALU_DEP_3) | instskip(NEXT) | instid1(VALU_DEP_1)
	v_lshrrev_b32_e32 v87, 16, v90
	v_and_or_b32 v87, 0xffff0000, v88, v87
	s_delay_alu instid0(VALU_DEP_3) | instskip(NEXT) | instid1(VALU_DEP_1)
	v_lshrrev_b32_e32 v88, 16, v124
	v_and_or_b32 v88, 0xffff0000, v123, v88
	ds_load_b128 v[123:126], v93 offset:4096
	s_wait_dscnt 0x0
	v_lshrrev_b32_e32 v127, 4, v123
	v_lshrrev_b32_e32 v128, 8, v123
	;; [unrolled: 1-line block ×3, first 2 shown]
	v_and_or_b32 v90, v123, 15, 0x4b000000
	v_lshrrev_b32_e32 v132, 12, v124
	v_and_or_b32 v127, v127, 15, 0x4b000000
	v_and_or_b32 v128, v128, 15, 0x4b000000
	v_and_or_b32 v129, v129, 15, 0x4b000000
	v_add_f32_e32 v90, 0xcb000008, v90
	v_lshrrev_b32_e32 v131, 8, v124
	s_delay_alu instid0(VALU_DEP_4) | instskip(NEXT) | instid1(VALU_DEP_4)
	v_dual_add_f32 v127, 0xcb000008, v127 :: v_dual_add_f32 v128, 0xcb000008, v128
	v_add_f32_e32 v129, 0xcb000008, v129
	v_and_or_b32 v132, v132, 15, 0x4b000000
	s_delay_alu instid0(VALU_DEP_4) | instskip(NEXT) | instid1(VALU_DEP_4)
	v_and_or_b32 v131, v131, 15, 0x4b000000
	v_lshrrev_b32_e32 v127, 16, v127
	v_lshrrev_b32_e32 v135, 12, v125
	s_delay_alu instid0(VALU_DEP_3) | instskip(NEXT) | instid1(VALU_DEP_3)
	v_dual_add_f32 v132, 0xcb000008, v132 :: v_dual_add_f32 v133, 0xcb000008, v131
	v_and_or_b32 v127, 0xffff0000, v90, v127
	v_lshrrev_b32_e32 v90, 16, v129
	s_delay_alu instid0(VALU_DEP_4) | instskip(NEXT) | instid1(VALU_DEP_2)
	v_and_or_b32 v135, v135, 15, 0x4b000000
	v_and_or_b32 v128, 0xffff0000, v128, v90
	v_ashrrev_i32_e32 v90, 16, v123
	s_delay_alu instid0(VALU_DEP_3) | instskip(NEXT) | instid1(VALU_DEP_2)
	v_add_f32_e32 v136, 0xcb000008, v135
	v_and_or_b32 v123, v90, 15, 0x4b000000
	v_lshrrev_b32_e32 v129, 4, v90
	v_lshrrev_b32_e32 v130, 8, v90
	;; [unrolled: 1-line block ×3, first 2 shown]
	s_delay_alu instid0(VALU_DEP_3) | instskip(NEXT) | instid1(VALU_DEP_3)
	v_and_or_b32 v129, v129, 15, 0x4b000000
	v_and_or_b32 v130, v130, 15, 0x4b000000
	s_delay_alu instid0(VALU_DEP_3) | instskip(NEXT) | instid1(VALU_DEP_2)
	v_and_or_b32 v90, v90, 15, 0x4b000000
	v_dual_add_f32 v123, 0xcb000008, v123 :: v_dual_add_f32 v130, 0xcb000008, v130
	s_delay_alu instid0(VALU_DEP_2) | instskip(NEXT) | instid1(VALU_DEP_1)
	v_add_f32_e32 v90, 0xcb000008, v90
	v_lshrrev_b32_e32 v90, 16, v90
	s_delay_alu instid0(VALU_DEP_1) | instskip(SKIP_1) | instid1(VALU_DEP_1)
	v_and_or_b32 v130, 0xffff0000, v130, v90
	v_and_or_b32 v90, v124, 15, 0x4b000000
	v_dual_add_f32 v129, 0xcb000008, v129 :: v_dual_add_f32 v90, 0xcb000008, v90
	s_delay_alu instid0(VALU_DEP_1) | instskip(NEXT) | instid1(VALU_DEP_1)
	v_lshrrev_b32_e32 v129, 16, v129
	v_and_or_b32 v129, 0xffff0000, v123, v129
	v_lshrrev_b32_e32 v123, 4, v124
	s_delay_alu instid0(VALU_DEP_1) | instskip(NEXT) | instid1(VALU_DEP_1)
	v_and_or_b32 v123, v123, 15, 0x4b000000
	v_add_f32_e32 v123, 0xcb000008, v123
	s_delay_alu instid0(VALU_DEP_1) | instskip(NEXT) | instid1(VALU_DEP_1)
	v_lshrrev_b32_e32 v123, 16, v123
	v_and_or_b32 v131, 0xffff0000, v90, v123
	v_lshrrev_b32_e32 v90, 16, v132
	s_delay_alu instid0(VALU_DEP_1) | instskip(SKIP_1) | instid1(VALU_DEP_1)
	v_and_or_b32 v132, 0xffff0000, v133, v90
	v_ashrrev_i32_e32 v90, 16, v124
	v_lshrrev_b32_e32 v124, 4, v90
	v_and_or_b32 v123, v90, 15, 0x4b000000
	v_lshrrev_b32_e32 v133, 8, v90
	v_lshrrev_b32_e32 v90, 12, v90
	s_delay_alu instid0(VALU_DEP_4) | instskip(NEXT) | instid1(VALU_DEP_3)
	v_and_or_b32 v124, v124, 15, 0x4b000000
	v_and_or_b32 v133, v133, 15, 0x4b000000
	v_add_f32_e32 v123, 0xcb000008, v123
	s_delay_alu instid0(VALU_DEP_4) | instskip(NEXT) | instid1(VALU_DEP_4)
	v_and_or_b32 v90, v90, 15, 0x4b000000
	v_add_f32_e32 v124, 0xcb000008, v124
	s_delay_alu instid0(VALU_DEP_4) | instskip(NEXT) | instid1(VALU_DEP_2)
	v_add_f32_e32 v134, 0xcb000008, v133
	v_lshrrev_b32_e32 v124, 16, v124
	s_delay_alu instid0(VALU_DEP_1) | instskip(SKIP_2) | instid1(VALU_DEP_2)
	v_and_or_b32 v133, 0xffff0000, v123, v124
	v_lshrrev_b32_e32 v123, 4, v125
	v_lshrrev_b32_e32 v124, 8, v125
	v_and_or_b32 v123, v123, 15, 0x4b000000
	v_add_f32_e32 v90, 0xcb000008, v90
	s_delay_alu instid0(VALU_DEP_3) | instskip(NEXT) | instid1(VALU_DEP_3)
	v_and_or_b32 v124, v124, 15, 0x4b000000
	v_add_f32_e32 v123, 0xcb000008, v123
	s_delay_alu instid0(VALU_DEP_3) | instskip(NEXT) | instid1(VALU_DEP_3)
	v_lshrrev_b32_e32 v90, 16, v90
	v_add_f32_e32 v124, 0xcb000008, v124
	s_delay_alu instid0(VALU_DEP_3) | instskip(NEXT) | instid1(VALU_DEP_3)
	v_lshrrev_b32_e32 v123, 16, v123
	v_and_or_b32 v134, 0xffff0000, v134, v90
	v_and_or_b32 v90, v125, 15, 0x4b000000
	s_delay_alu instid0(VALU_DEP_1) | instskip(NEXT) | instid1(VALU_DEP_1)
	v_add_f32_e32 v90, 0xcb000008, v90
	v_and_or_b32 v135, 0xffff0000, v90, v123
	v_lshrrev_b32_e32 v90, 16, v136
	s_delay_alu instid0(VALU_DEP_1) | instskip(SKIP_1) | instid1(VALU_DEP_1)
	v_and_or_b32 v136, 0xffff0000, v124, v90
	v_ashrrev_i32_e32 v90, 16, v125
	v_lshrrev_b32_e32 v124, 4, v90
	v_and_or_b32 v123, v90, 15, 0x4b000000
	v_lshrrev_b32_e32 v125, 8, v90
	v_lshrrev_b32_e32 v90, 12, v90
	s_delay_alu instid0(VALU_DEP_4) | instskip(NEXT) | instid1(VALU_DEP_4)
	v_and_or_b32 v124, v124, 15, 0x4b000000
	v_add_f32_e32 v123, 0xcb000008, v123
	s_delay_alu instid0(VALU_DEP_4) | instskip(NEXT) | instid1(VALU_DEP_4)
	v_and_or_b32 v125, v125, 15, 0x4b000000
	v_and_or_b32 v90, v90, 15, 0x4b000000
	s_delay_alu instid0(VALU_DEP_2) | instskip(NEXT) | instid1(VALU_DEP_2)
	v_dual_add_f32 v124, 0xcb000008, v124 :: v_dual_add_f32 v125, 0xcb000008, v125
	v_add_f32_e32 v90, 0xcb000008, v90
	s_delay_alu instid0(VALU_DEP_2) | instskip(NEXT) | instid1(VALU_DEP_2)
	v_lshrrev_b32_e32 v124, 16, v124
	v_lshrrev_b32_e32 v90, 16, v90
	s_delay_alu instid0(VALU_DEP_2) | instskip(SKIP_2) | instid1(VALU_DEP_4)
	v_and_or_b32 v137, 0xffff0000, v123, v124
	v_lshrrev_b32_e32 v123, 4, v126
	v_lshrrev_b32_e32 v124, 8, v126
	v_and_or_b32 v138, 0xffff0000, v125, v90
	v_lshrrev_b32_e32 v125, 12, v126
	v_and_or_b32 v90, v126, 15, 0x4b000000
	v_and_or_b32 v123, v123, 15, 0x4b000000
	v_and_or_b32 v124, v124, 15, 0x4b000000
	s_delay_alu instid0(VALU_DEP_4) | instskip(NEXT) | instid1(VALU_DEP_3)
	v_and_or_b32 v125, v125, 15, 0x4b000000
	v_dual_add_f32 v90, 0xcb000008, v90 :: v_dual_add_f32 v123, 0xcb000008, v123
	s_delay_alu instid0(VALU_DEP_2) | instskip(NEXT) | instid1(VALU_DEP_2)
	v_dual_add_f32 v124, 0xcb000008, v124 :: v_dual_add_f32 v125, 0xcb000008, v125
	v_lshrrev_b32_e32 v123, 16, v123
	s_delay_alu instid0(VALU_DEP_1) | instskip(NEXT) | instid1(VALU_DEP_3)
	v_and_or_b32 v123, 0xffff0000, v90, v123
	v_lshrrev_b32_e32 v90, 16, v125
	s_delay_alu instid0(VALU_DEP_1) | instskip(SKIP_1) | instid1(VALU_DEP_1)
	v_and_or_b32 v124, 0xffff0000, v124, v90
	v_ashrrev_i32_e32 v90, 16, v126
	v_and_or_b32 v125, v90, 15, 0x4b000000
	v_lshrrev_b32_e32 v126, 4, v90
	v_lshrrev_b32_e32 v139, 8, v90
	;; [unrolled: 1-line block ×3, first 2 shown]
	s_delay_alu instid0(VALU_DEP_4) | instskip(NEXT) | instid1(VALU_DEP_4)
	v_add_f32_e32 v125, 0xcb000008, v125
	v_and_or_b32 v126, v126, 15, 0x4b000000
	s_delay_alu instid0(VALU_DEP_4) | instskip(NEXT) | instid1(VALU_DEP_4)
	v_and_or_b32 v139, v139, 15, 0x4b000000
	v_and_or_b32 v90, v90, 15, 0x4b000000
	s_delay_alu instid0(VALU_DEP_2) | instskip(NEXT) | instid1(VALU_DEP_2)
	v_dual_add_f32 v126, 0xcb000008, v126 :: v_dual_add_f32 v139, 0xcb000008, v139
	v_add_f32_e32 v90, 0xcb000008, v90
	s_delay_alu instid0(VALU_DEP_2) | instskip(NEXT) | instid1(VALU_DEP_2)
	v_lshrrev_b32_e32 v126, 16, v126
	v_lshrrev_b32_e32 v90, 16, v90
	s_delay_alu instid0(VALU_DEP_2) | instskip(NEXT) | instid1(VALU_DEP_2)
	v_and_or_b32 v125, 0xffff0000, v125, v126
	v_and_or_b32 v126, 0xffff0000, v139, v90
	; sched_barrier mask(0x00000000)
	s_barrier_signal -1
	s_barrier_wait -1
	; sched_barrier mask(0x00000000)
	v_wmma_f32_16x16x16_bf16 v[1:8], v[73:76], v[69:72], v[1:8]
	s_delay_alu instid0(VALU_DEP_1) | instskip(NEXT) | instid1(VALU_DEP_1)
	v_wmma_f32_16x16x16_bf16 v[1:8], v[77:80], v[65:68], v[1:8]
	v_wmma_f32_16x16x16_bf16 v[1:8], v[81:84], v[61:64], v[1:8]
	s_delay_alu instid0(VALU_DEP_1)
	v_wmma_f32_16x16x16_bf16 v[1:8], v[85:88], v[57:60], v[1:8]
	; sched_barrier mask(0x00000000)
	s_setprio 1
	; sched_barrier mask(0x00000000)
	; sched_barrier mask(0x00000000)
	s_wait_dscnt 0x0
	s_barrier_signal -1
	s_barrier_wait -1
	; sched_barrier mask(0x00000000)
	v_wmma_f32_16x16x16_bf16 v[1:8], v[127:130], v[21:24], v[1:8]
	s_delay_alu instid0(VALU_DEP_1) | instskip(NEXT) | instid1(VALU_DEP_1)
	v_wmma_f32_16x16x16_bf16 v[1:8], v[131:134], v[17:20], v[1:8]
	v_wmma_f32_16x16x16_bf16 v[1:8], v[135:138], v[13:16], v[1:8]
	s_delay_alu instid0(VALU_DEP_1)
	v_wmma_f32_16x16x16_bf16 v[1:8], v[123:126], v[9:12], v[1:8]
	; sched_barrier mask(0x00000000)
	s_setprio 0
	; sched_barrier mask(0x00000000)
	v_add_nc_u32_e32 v9, 0x80, v89
	v_lshrrev_b32_e32 v10, 31, v89
	v_sub_nc_u32_e32 v57, v121, v108
	v_lshlrev_b32_e32 v61, 1, v115
	v_add_nc_u32_e64 v65, 5, s21
	v_lshrrev_b32_e32 v11, 31, v9
	v_add_nc_u32_e32 v10, v89, v10
	v_lshlrev_b32_e32 v59, 3, v57
	v_lshrrev_b32_e32 v57, 31, v107
	v_add_nc_u32_e32 v58, v120, v61
	v_add_nc_u32_e32 v9, v9, v11
	;; [unrolled: 1-line block ×3, first 2 shown]
	v_ashrrev_i32_e32 v10, 1, v10
	v_add_nc_u32_e32 v63, 0x80, v59
	v_add_nc_u32_e32 v57, v107, v57
	v_ashrrev_i32_e32 v9, 1, v9
	s_clause 0x1
	buffer_load_b128 v[21:24], v117, s[8:11], null offen offset:1024
	buffer_load_b128 v[17:20], v11, s[8:11], null offen
	s_clause 0x1
	buffer_load_b128 v[13:16], v10, s[0:3], null offen
	buffer_load_b128 v[9:12], v9, s[0:3], null offen
	v_lshlrev_b32_e32 v62, 1, v63
	v_ashrrev_i32_e32 v60, 1, v57
	v_add3_u32 v66, v119, v63, v115
	s_delay_alu instid0(VALU_DEP_3)
	v_add_nc_u32_e32 v64, v58, v62
	s_wait_loadcnt 0xb
	ds_store_b128 v58, v[25:28]
	s_wait_loadcnt 0xa
	ds_store_b128 v64, v[29:32]
	s_wait_loadcnt 0x9
	ds_store_b128 v60, v[33:36] offset:4096
	s_wait_loadcnt 0x8
	ds_store_b128 v116, v[37:40] offset:4096
	s_wait_dscnt 0x0
	s_barrier_signal -1
	s_barrier_wait -1
	ds_load_b128 v[25:28], v102 offset:4096
	v_sub_nc_u32_e32 v29, v65, v122
	s_delay_alu instid0(VALU_DEP_1)
	v_mad_co_u64_u32 v[57:58], null, v29, s12, v[89:90]
	ds_load_b128 v[29:32], v94
	ds_load_b128 v[33:36], v95
	;; [unrolled: 1-line block ×6, first 2 shown]
	ds_load_b128 v[79:82], v93 offset:4096
	ds_load_b128 v[83:86], v100
	ds_load_b128 v[87:90], v101
	s_wait_dscnt 0x9
	v_lshrrev_b32_e32 v119, 8, v25
	v_lshrrev_b32_e32 v120, 12, v25
	v_ashrrev_i32_e32 v121, 16, v25
	v_lshrrev_b32_e32 v58, 4, v25
	v_and_or_b32 v25, v25, 15, 0x4b000000
	v_and_or_b32 v119, v119, 15, 0x4b000000
	v_and_or_b32 v120, v120, 15, 0x4b000000
	v_lshrrev_b32_e32 v122, 4, v121
	v_and_or_b32 v58, v58, 15, 0x4b000000
	v_lshrrev_b32_e32 v124, 8, v121
	v_add_f32_e32 v123, 0xcb000008, v119
	v_add_f32_e32 v119, 0xcb000008, v120
	v_and_or_b32 v120, v122, 15, 0x4b000000
	v_add_f32_e32 v58, 0xcb000008, v58
	v_lshrrev_b32_e32 v122, 12, v121
	v_add_f32_e32 v25, 0xcb000008, v25
	v_lshrrev_b32_e32 v125, 16, v119
	;; [unrolled: 2-line block ×3, first 2 shown]
	v_and_or_b32 v122, v122, 15, 0x4b000000
	v_and_or_b32 v124, v124, 15, 0x4b000000
	;; [unrolled: 1-line block ×3, first 2 shown]
	v_lshrrev_b32_e32 v126, 16, v120
	v_and_or_b32 v120, 0xffff0000, v123, v125
	v_lshrrev_b32_e32 v123, 8, v26
	v_and_or_b32 v119, 0xffff0000, v25, v58
	v_add_f32_e32 v58, 0xcb000008, v124
	v_lshrrev_b32_e32 v124, 12, v26
	v_and_or_b32 v125, v26, 15, 0x4b000000
	v_and_or_b32 v123, v123, 15, 0x4b000000
	v_add_f32_e32 v25, 0xcb000008, v122
	v_lshrrev_b32_e32 v122, 4, v26
	v_ashrrev_i32_e32 v26, 16, v26
	v_add_f32_e32 v121, 0xcb000008, v121
	v_and_or_b32 v124, v124, 15, 0x4b000000
	v_add_f32_e32 v128, 0xcb000008, v123
	v_and_or_b32 v122, v122, 15, 0x4b000000
	v_lshrrev_b32_e32 v127, 12, v26
	v_and_or_b32 v121, 0xffff0000, v121, v126
	v_lshrrev_b32_e32 v126, 4, v26
	v_lshrrev_b32_e32 v25, 16, v25
	v_add_f32_e32 v122, 0xcb000008, v122
	v_and_or_b32 v127, v127, 15, 0x4b000000
	v_add_f32_e32 v123, 0xcb000008, v124
	v_lshrrev_b32_e32 v124, 8, v26
	v_and_or_b32 v126, v126, 15, 0x4b000000
	v_lshrrev_b32_e32 v129, 16, v122
	v_add_f32_e32 v125, 0xcb000008, v125
	v_and_or_b32 v26, v26, 15, 0x4b000000
	v_and_or_b32 v122, v124, 15, 0x4b000000
	v_add_f32_e32 v124, 0xcb000008, v126
	v_add_f32_e32 v126, 0xcb000008, v127
	v_lshrrev_b32_e32 v127, 16, v123
	v_and_or_b32 v123, 0xffff0000, v125, v129
	v_add_f32_e32 v130, 0xcb000008, v122
	v_and_or_b32 v122, 0xffff0000, v58, v25
	v_lshrrev_b32_e32 v25, 4, v27
	v_lshrrev_b32_e32 v131, 16, v124
	v_and_or_b32 v124, 0xffff0000, v128, v127
	v_and_or_b32 v127, v27, 15, 0x4b000000
	v_add_f32_e32 v26, 0xcb000008, v26
	v_and_or_b32 v25, v25, 15, 0x4b000000
	v_lshrrev_b32_e32 v58, 12, v27
	v_lshrrev_b32_e32 v126, 16, v126
	v_add_f32_e32 v127, 0xcb000008, v127
	v_and_or_b32 v125, 0xffff0000, v26, v131
	v_lshrrev_b32_e32 v26, 8, v27
	v_ashrrev_i32_e32 v27, 16, v27
	v_add_f32_e32 v25, 0xcb000008, v25
	v_and_or_b32 v126, 0xffff0000, v130, v126
	v_and_or_b32 v58, v58, 15, 0x4b000000
	;; [unrolled: 1-line block ×3, first 2 shown]
	v_lshrrev_b32_e32 v128, 4, v27
	v_lshrrev_b32_e32 v25, 16, v25
	;; [unrolled: 1-line block ×4, first 2 shown]
	v_and_or_b32 v27, v27, 15, 0x4b000000
	v_and_or_b32 v128, v128, 15, 0x4b000000
	;; [unrolled: 1-line block ×3, first 2 shown]
	v_lshrrev_b32_e32 v25, 4, v28
	v_and_or_b32 v129, v129, 15, 0x4b000000
	v_add_f32_e32 v26, 0xcb000008, v26
	v_dual_add_f32 v58, 0xcb000008, v58 :: v_dual_add_f32 v27, 0xcb000008, v27
	s_delay_alu instid0(VALU_DEP_4) | instskip(NEXT) | instid1(VALU_DEP_4)
	v_and_or_b32 v25, v25, 15, 0x4b000000
	v_dual_add_f32 v128, 0xcb000008, v128 :: v_dual_add_f32 v129, 0xcb000008, v129
	v_and_or_b32 v130, v130, 15, 0x4b000000
	s_delay_alu instid0(VALU_DEP_4) | instskip(NEXT) | instid1(VALU_DEP_4)
	v_lshrrev_b32_e32 v58, 16, v58
	v_add_f32_e32 v25, 0xcb000008, v25
	s_delay_alu instid0(VALU_DEP_4)
	v_lshrrev_b32_e32 v131, 16, v128
	v_lshrrev_b32_e32 v132, 16, v129
	s_wait_dscnt 0x2
	v_and_or_b32 v134, v79, 15, 0x4b000000
	v_and_or_b32 v128, 0xffff0000, v26, v58
	v_ashrrev_i32_e32 v58, 16, v28
	v_and_or_b32 v129, 0xffff0000, v27, v131
	v_lshrrev_b32_e32 v27, 12, v28
	v_lshrrev_b32_e32 v26, 8, v28
	v_and_or_b32 v28, v28, 15, 0x4b000000
	v_lshrrev_b32_e32 v131, 4, v58
	v_lshrrev_b32_e32 v133, 8, v58
	v_and_or_b32 v27, v27, 15, 0x4b000000
	v_add_f32_e32 v130, 0xcb000008, v130
	v_lshrrev_b32_e32 v25, 16, v25
	v_and_or_b32 v131, v131, 15, 0x4b000000
	s_delay_alu instid0(VALU_DEP_4) | instskip(NEXT) | instid1(VALU_DEP_4)
	v_dual_add_f32 v28, 0xcb000008, v28 :: v_dual_add_f32 v27, 0xcb000008, v27
	v_and_or_b32 v130, 0xffff0000, v130, v132
	v_lshrrev_b32_e32 v132, 12, v58
	v_and_or_b32 v133, v133, 15, 0x4b000000
	v_and_or_b32 v26, v26, 15, 0x4b000000
	;; [unrolled: 1-line block ×3, first 2 shown]
	v_add_f32_e32 v131, 0xcb000008, v131
	v_and_or_b32 v132, v132, 15, 0x4b000000
	v_and_or_b32 v25, 0xffff0000, v28, v25
	v_add_f32_e32 v26, 0xcb000008, v26
	v_lshrrev_b32_e32 v27, 16, v27
	v_lshrrev_b32_e32 v131, 16, v131
	v_add_f32_e32 v28, 0xcb000008, v132
	v_add_f32_e32 v132, 0xcb000008, v133
	v_lshrrev_b32_e32 v133, 12, v79
	v_and_or_b32 v26, 0xffff0000, v26, v27
	s_delay_alu instid0(VALU_DEP_2) | instskip(SKIP_1) | instid1(VALU_DEP_1)
	v_and_or_b32 v133, v133, 15, 0x4b000000
	v_add_f32_e32 v58, 0xcb000008, v58
	v_and_or_b32 v27, 0xffff0000, v58, v131
	v_lshrrev_b32_e32 v58, 4, v79
	v_lshrrev_b32_e32 v131, 8, v79
	v_ashrrev_i32_e32 v79, 16, v79
	s_delay_alu instid0(VALU_DEP_3) | instskip(NEXT) | instid1(VALU_DEP_3)
	v_and_or_b32 v58, v58, 15, 0x4b000000
	v_and_or_b32 v131, v131, 15, 0x4b000000
	s_delay_alu instid0(VALU_DEP_3) | instskip(SKIP_1) | instid1(VALU_DEP_3)
	v_lshrrev_b32_e32 v135, 4, v79
	v_lshrrev_b32_e32 v136, 12, v79
	v_add_f32_e32 v137, 0xcb000008, v131
	v_add_f32_e32 v131, 0xcb000008, v133
	v_lshrrev_b32_e32 v133, 8, v79
	v_and_or_b32 v135, v135, 15, 0x4b000000
	v_and_or_b32 v79, v79, 15, 0x4b000000
	;; [unrolled: 1-line block ×3, first 2 shown]
	v_lshrrev_b32_e32 v138, 16, v131
	v_and_or_b32 v133, v133, 15, 0x4b000000
	v_dual_add_f32 v135, 0xcb000008, v135 :: v_dual_add_f32 v134, 0xcb000008, v134
	s_delay_alu instid0(VALU_DEP_4) | instskip(NEXT) | instid1(VALU_DEP_3)
	v_dual_add_f32 v79, 0xcb000008, v79 :: v_dual_add_f32 v136, 0xcb000008, v136
	v_add_f32_e32 v139, 0xcb000008, v133
	s_delay_alu instid0(VALU_DEP_3) | instskip(SKIP_1) | instid1(VALU_DEP_4)
	v_lshrrev_b32_e32 v133, 16, v135
	v_lshrrev_b32_e32 v28, 16, v28
	v_lshrrev_b32_e32 v135, 16, v136
	v_and_or_b32 v136, v80, 15, 0x4b000000
	s_delay_alu instid0(VALU_DEP_4) | instskip(SKIP_3) | instid1(VALU_DEP_3)
	v_and_or_b32 v133, 0xffff0000, v79, v133
	v_lshrrev_b32_e32 v79, 8, v80
	v_and_or_b32 v28, 0xffff0000, v132, v28
	v_and_or_b32 v132, 0xffff0000, v137, v138
	v_and_or_b32 v79, v79, 15, 0x4b000000
	s_delay_alu instid0(VALU_DEP_1) | instskip(NEXT) | instid1(VALU_DEP_1)
	v_dual_add_f32 v58, 0xcb000008, v58 :: v_dual_add_f32 v79, 0xcb000008, v79
	v_lshrrev_b32_e32 v58, 16, v58
	s_delay_alu instid0(VALU_DEP_1) | instskip(SKIP_4) | instid1(VALU_DEP_3)
	v_and_or_b32 v131, 0xffff0000, v134, v58
	v_and_or_b32 v134, 0xffff0000, v139, v135
	v_lshrrev_b32_e32 v58, 4, v80
	v_lshrrev_b32_e32 v135, 12, v80
	v_ashrrev_i32_e32 v80, 16, v80
	v_and_or_b32 v58, v58, 15, 0x4b000000
	s_delay_alu instid0(VALU_DEP_3) | instskip(NEXT) | instid1(VALU_DEP_3)
	v_and_or_b32 v135, v135, 15, 0x4b000000
	v_lshrrev_b32_e32 v139, 8, v80
	v_lshrrev_b32_e32 v137, 4, v80
	;; [unrolled: 1-line block ×3, first 2 shown]
	v_and_or_b32 v80, v80, 15, 0x4b000000
	v_add_f32_e32 v135, 0xcb000008, v135
	v_and_or_b32 v139, v139, 15, 0x4b000000
	v_add_f32_e32 v58, 0xcb000008, v58
	;; [unrolled: 2-line block ×3, first 2 shown]
	v_and_or_b32 v138, v138, 15, 0x4b000000
	v_lshrrev_b32_e32 v140, 16, v135
	v_add_f32_e32 v139, 0xcb000008, v139
	v_lshrrev_b32_e32 v58, 16, v58
	s_delay_alu instid0(VALU_DEP_4) | instskip(NEXT) | instid1(VALU_DEP_2)
	v_dual_add_f32 v137, 0xcb000008, v137 :: v_dual_add_f32 v138, 0xcb000008, v138
	v_and_or_b32 v135, 0xffff0000, v136, v58
	v_and_or_b32 v136, 0xffff0000, v79, v140
	v_lshrrev_b32_e32 v79, 8, v81
	s_delay_alu instid0(VALU_DEP_4) | instskip(SKIP_2) | instid1(VALU_DEP_4)
	v_lshrrev_b32_e32 v137, 16, v137
	v_lshrrev_b32_e32 v138, 16, v138
	;; [unrolled: 1-line block ×3, first 2 shown]
	v_and_or_b32 v79, v79, 15, 0x4b000000
	v_add_f32_e32 v80, 0xcb000008, v80
	s_delay_alu instid0(VALU_DEP_4)
	v_and_or_b32 v138, 0xffff0000, v139, v138
	v_ashrrev_i32_e32 v139, 16, v81
	v_and_or_b32 v58, v58, 15, 0x4b000000
	v_add_f32_e32 v141, 0xcb000008, v79
	v_and_or_b32 v137, 0xffff0000, v80, v137
	v_lshrrev_b32_e32 v80, 12, v81
	v_lshrrev_b32_e32 v140, 4, v139
	v_and_or_b32 v81, v81, 15, 0x4b000000
	v_lshrrev_b32_e32 v142, 8, v139
	s_delay_alu instid0(VALU_DEP_4) | instskip(NEXT) | instid1(VALU_DEP_3)
	v_and_or_b32 v80, v80, 15, 0x4b000000
	v_dual_add_f32 v58, 0xcb000008, v58 :: v_dual_add_f32 v81, 0xcb000008, v81
	s_delay_alu instid0(VALU_DEP_3) | instskip(NEXT) | instid1(VALU_DEP_3)
	v_and_or_b32 v142, v142, 15, 0x4b000000
	v_add_f32_e32 v79, 0xcb000008, v80
	v_and_or_b32 v80, v140, 15, 0x4b000000
	v_lshrrev_b32_e32 v140, 12, v139
	v_and_or_b32 v139, v139, 15, 0x4b000000
	v_lshrrev_b32_e32 v58, 16, v58
	v_lshrrev_b32_e32 v143, 16, v79
	v_add_f32_e32 v80, 0xcb000008, v80
	v_and_or_b32 v140, v140, 15, 0x4b000000
	v_add_f32_e32 v139, 0xcb000008, v139
	v_and_or_b32 v79, 0xffff0000, v81, v58
	s_delay_alu instid0(VALU_DEP_4)
	v_lshrrev_b32_e32 v144, 16, v80
	v_and_or_b32 v80, 0xffff0000, v141, v143
	v_lshrrev_b32_e32 v141, 8, v82
	v_and_or_b32 v143, v82, 15, 0x4b000000
	v_add_f32_e32 v58, 0xcb000008, v140
	v_and_or_b32 v81, 0xffff0000, v139, v144
	v_lshrrev_b32_e32 v139, 4, v82
	v_and_or_b32 v141, v141, 15, 0x4b000000
	v_add_f32_e32 v143, 0xcb000008, v143
	v_lshrrev_b32_e32 v58, 16, v58
	s_delay_alu instid0(VALU_DEP_4) | instskip(SKIP_3) | instid1(VALU_DEP_4)
	v_and_or_b32 v139, v139, 15, 0x4b000000
	v_add_f32_e32 v140, 0xcb000008, v142
	v_lshrrev_b32_e32 v142, 12, v82
	v_ashrrev_i32_e32 v82, 16, v82
	v_add_f32_e32 v139, 0xcb000008, v139
	s_delay_alu instid0(VALU_DEP_3) | instskip(NEXT) | instid1(VALU_DEP_3)
	v_and_or_b32 v142, v142, 15, 0x4b000000
	v_lshrrev_b32_e32 v144, 4, v82
	v_lshrrev_b32_e32 v145, 12, v82
	;; [unrolled: 1-line block ×3, first 2 shown]
	s_delay_alu instid0(VALU_DEP_4) | instskip(NEXT) | instid1(VALU_DEP_4)
	v_dual_add_f32 v141, 0xcb000008, v141 :: v_dual_add_f32 v142, 0xcb000008, v142
	v_and_or_b32 v144, v144, 15, 0x4b000000
	s_delay_alu instid0(VALU_DEP_4) | instskip(SKIP_3) | instid1(VALU_DEP_4)
	v_and_or_b32 v145, v145, 15, 0x4b000000
	v_and_or_b32 v82, v82, 15, 0x4b000000
	v_and_or_b32 v146, v146, 15, 0x4b000000
	v_lshrrev_b32_e32 v139, 16, v139
	v_dual_add_f32 v144, 0xcb000008, v144 :: v_dual_add_f32 v145, 0xcb000008, v145
	v_lshrrev_b32_e32 v142, 16, v142
	v_add_f32_e32 v147, 0xcb000008, v82
	v_add_f32_e32 v146, 0xcb000008, v146
	s_delay_alu instid0(VALU_DEP_4)
	v_lshrrev_b32_e32 v144, 16, v144
	v_lshrrev_b32_e32 v145, 16, v145
	v_and_or_b32 v82, 0xffff0000, v140, v58
	v_and_or_b32 v139, 0xffff0000, v143, v139
	v_and_or_b32 v140, 0xffff0000, v141, v142
	v_and_or_b32 v141, 0xffff0000, v147, v144
	v_and_or_b32 v142, 0xffff0000, v146, v145
	; sched_barrier mask(0x00000000)
	s_barrier_signal -1
	s_barrier_wait -1
	; sched_barrier mask(0x00000000)
	v_wmma_f32_16x16x16_bf16 v[1:8], v[119:122], v[29:32], v[1:8]
	s_delay_alu instid0(VALU_DEP_1) | instskip(NEXT) | instid1(VALU_DEP_1)
	v_wmma_f32_16x16x16_bf16 v[1:8], v[123:126], v[33:36], v[1:8]
	v_wmma_f32_16x16x16_bf16 v[1:8], v[127:130], v[37:40], v[1:8]
	s_delay_alu instid0(VALU_DEP_1)
	v_wmma_f32_16x16x16_bf16 v[1:8], v[25:28], v[67:70], v[1:8]
	; sched_barrier mask(0x00000000)
	s_setprio 1
	; sched_barrier mask(0x00000000)
	; sched_barrier mask(0x00000000)
	s_wait_dscnt 0x0
	s_barrier_signal -1
	s_barrier_wait -1
	; sched_barrier mask(0x00000000)
	v_wmma_f32_16x16x16_bf16 v[1:8], v[131:134], v[71:74], v[1:8]
	s_delay_alu instid0(VALU_DEP_1) | instskip(NEXT) | instid1(VALU_DEP_1)
	v_wmma_f32_16x16x16_bf16 v[1:8], v[135:138], v[75:78], v[1:8]
	v_wmma_f32_16x16x16_bf16 v[1:8], v[79:82], v[83:86], v[1:8]
	s_delay_alu instid0(VALU_DEP_1)
	v_wmma_f32_16x16x16_bf16 v[1:8], v[139:142], v[87:90], v[1:8]
	; sched_barrier mask(0x00000000)
	s_setprio 0
	; sched_barrier mask(0x00000000)
	v_add_nc_u32_e32 v25, 0x80, v57
	v_lshrrev_b32_e32 v26, 31, v57
	v_add_nc_u32_e64 v58, 6, s21
	v_add_nc_u32_e32 v64, v64, v61
	v_add_nc_u32_e32 v104, 12, v104
	v_lshrrev_b32_e32 v27, 31, v25
	v_add_nc_u32_e32 v26, v57, v26
	v_sub_nc_u32_e32 v58, v58, v65
	v_add3_u32 v61, v66, v63, v115
	v_add_nc_u32_e32 v105, v105, v110
	v_add_nc_u32_e32 v25, v25, v27
	v_ashrrev_i32_e32 v33, 1, v26
	v_mad_co_u64_u32 v[57:58], null, v58, s12, v[57:58]
	v_add_nc_u32_e32 v114, 0x300, v114
	s_delay_alu instid0(VALU_DEP_4)
	v_ashrrev_i32_e32 v37, 1, v25
	v_add_nc_u32_e32 v111, 0x300, v111
	s_clause 0x1
	buffer_load_b128 v[25:28], v117, s[8:11], null offen offset:1280
	buffer_load_b128 v[29:32], v118, s[8:11], null offen
	s_clause 0x1
	buffer_load_b128 v[33:36], v33, s[0:3], null offen
	buffer_load_b128 v[37:40], v37, s[0:3], null offen
	v_add_nc_u32_e32 v62, v64, v62
	v_lshrrev_b32_e32 v58, 2, v104
	s_add_co_i32 s21, s21, 3
	s_wait_loadcnt 0xb
	ds_store_b128 v64, v[41:44]
	s_wait_loadcnt 0xa
	ds_store_b128 v62, v[45:48]
	s_wait_loadcnt 0x9
	ds_store_b128 v60, v[49:52] offset:4096
	s_wait_loadcnt 0x8
	ds_store_b128 v116, v[53:56] offset:4096
	s_wait_alu 0xfffe
	s_cmp_lt_i32 s21, s7
	s_cbranch_scc1 .LBB7_12
; %bb.13:
	s_wait_dscnt 0x0
	s_barrier_signal -1
	s_barrier_wait -1
	s_wait_loadcnt 0x1
	ds_load_b128 v[33:36], v102 offset:4096
	s_wait_loadcnt 0x0
	ds_load_b128 v[37:40], v94
	ds_load_b128 v[41:44], v95
	;; [unrolled: 1-line block ×8, first 2 shown]
	ds_load_b128 v[67:70], v93 offset:4096
	s_lshl_b64 s[0:1], s[18:19], 1
	s_delay_alu instid0(SALU_CYCLE_1)
	s_add_nc_u64 s[2:3], s[16:17], s[0:1]
	s_wait_dscnt 0x9
	v_lshrrev_b32_e32 v58, 4, v33
	v_and_or_b32 v57, v33, 15, 0x4b000000
	v_lshrrev_b32_e32 v61, 8, v33
	v_lshrrev_b32_e32 v71, 12, v33
	v_ashrrev_i32_e32 v33, 16, v33
	v_and_or_b32 v58, v58, 15, 0x4b000000
	v_add_f32_e32 v57, 0xcb000008, v57
	v_and_or_b32 v61, v61, 15, 0x4b000000
	v_and_or_b32 v71, v71, 15, 0x4b000000
	v_lshrrev_b32_e32 v72, 4, v33
	v_add_f32_e32 v58, 0xcb000008, v58
	v_lshrrev_b32_e32 v74, 4, v34
	v_lshrrev_b32_e32 v75, 8, v34
	v_add_f32_e32 v71, 0xcb000008, v71
	v_and_or_b32 v72, v72, 15, 0x4b000000
	v_lshrrev_b32_e32 v58, 16, v58
	v_lshrrev_b32_e32 v76, 12, v34
	v_add_f32_e32 v61, 0xcb000008, v61
	v_lshrrev_b32_e32 v78, 16, v71
	v_add_f32_e32 v72, 0xcb000008, v72
	v_and_or_b32 v71, 0xffff0000, v57, v58
	v_and_or_b32 v57, v34, 15, 0x4b000000
	v_ashrrev_i32_e32 v34, 16, v34
	v_and_or_b32 v73, v33, 15, 0x4b000000
	v_lshrrev_b32_e32 v77, 8, v33
	v_lshrrev_b32_e32 v33, 12, v33
	;; [unrolled: 1-line block ×3, first 2 shown]
	v_and_or_b32 v72, 0xffff0000, v61, v78
	v_and_or_b32 v58, v74, 15, 0x4b000000
	;; [unrolled: 1-line block ×3, first 2 shown]
	v_lshrrev_b32_e32 v75, 4, v34
	v_and_or_b32 v33, v33, 15, 0x4b000000
	v_and_or_b32 v74, v76, 15, 0x4b000000
	v_add_f32_e32 v58, 0xcb000008, v58
	v_lshrrev_b32_e32 v76, 12, v34
	v_lshrrev_b32_e32 v78, 8, v34
	v_and_or_b32 v75, v75, 15, 0x4b000000
	v_and_or_b32 v77, v77, 15, 0x4b000000
	v_lshrrev_b32_e32 v58, 16, v58
	v_and_or_b32 v76, v76, 15, 0x4b000000
	v_add_f32_e32 v33, 0xcb000008, v33
	v_and_or_b32 v34, v34, 15, 0x4b000000
	v_and_or_b32 v78, v78, 15, 0x4b000000
	v_add_f32_e32 v57, 0xcb000008, v57
	v_add_f32_e32 v75, 0xcb000008, v75
	v_dual_add_f32 v73, 0xcb000008, v73 :: v_dual_add_f32 v74, 0xcb000008, v74
	v_dual_add_f32 v77, 0xcb000008, v77 :: v_dual_add_f32 v34, 0xcb000008, v34
	v_add_f32_e32 v76, 0xcb000008, v76
	v_lshrrev_b32_e32 v33, 16, v33
	v_add_f32_e32 v78, 0xcb000008, v78
	v_lshrrev_b32_e32 v80, 16, v75
	v_and_or_b32 v75, 0xffff0000, v57, v58
	v_lshrrev_b32_e32 v57, 12, v35
	v_and_or_b32 v73, 0xffff0000, v73, v79
	;; [unrolled: 2-line block ×3, first 2 shown]
	v_and_or_b32 v77, 0xffff0000, v34, v80
	v_lshrrev_b32_e32 v33, 4, v35
	v_lshrrev_b32_e32 v34, 8, v35
	v_and_or_b32 v58, v35, 15, 0x4b000000
	v_ashrrev_i32_e32 v35, 16, v35
	v_and_or_b32 v57, v57, 15, 0x4b000000
	v_add_f32_e32 v61, 0xcb000008, v61
	v_and_or_b32 v34, v34, 15, 0x4b000000
	v_lshrrev_b32_e32 v81, 16, v76
	v_lshrrev_b32_e32 v80, 8, v35
	v_add_f32_e32 v57, 0xcb000008, v57
	v_and_or_b32 v33, v33, 15, 0x4b000000
	v_add_f32_e32 v58, 0xcb000008, v58
	v_and_or_b32 v76, 0xffff0000, v61, v79
	v_lshrrev_b32_e32 v61, 4, v35
	v_add_f32_e32 v34, 0xcb000008, v34
	v_and_or_b32 v80, v80, 15, 0x4b000000
	v_lshrrev_b32_e32 v57, 16, v57
	v_add_f32_e32 v33, 0xcb000008, v33
	v_lshrrev_b32_e32 v79, 12, v35
	v_and_or_b32 v61, v61, 15, 0x4b000000
	v_add_f32_e32 v82, 0xcb000008, v80
	v_and_or_b32 v80, 0xffff0000, v34, v57
	v_lshrrev_b32_e32 v34, 8, v36
	v_and_or_b32 v79, v79, 15, 0x4b000000
	v_and_or_b32 v35, v35, 15, 0x4b000000
	v_lshrrev_b32_e32 v33, 16, v33
	v_ashrrev_i32_e32 v57, 16, v36
	v_and_or_b32 v34, v34, 15, 0x4b000000
	v_add_f32_e32 v61, 0xcb000008, v61
	v_add_f32_e32 v79, 0xcb000008, v79
	;; [unrolled: 1-line block ×3, first 2 shown]
	v_and_or_b32 v78, 0xffff0000, v78, v81
	v_add_f32_e32 v34, 0xcb000008, v34
	v_lshrrev_b32_e32 v61, 16, v61
	v_lshrrev_b32_e32 v83, 16, v79
	v_and_or_b32 v79, 0xffff0000, v58, v33
	v_lshrrev_b32_e32 v33, 4, v36
	v_lshrrev_b32_e32 v58, 4, v57
	v_and_or_b32 v81, 0xffff0000, v35, v61
	v_lshrrev_b32_e32 v35, 12, v36
	v_and_or_b32 v82, 0xffff0000, v82, v83
	v_and_or_b32 v33, v33, 15, 0x4b000000
	;; [unrolled: 1-line block ×5, first 2 shown]
	v_lshrrev_b32_e32 v61, 12, v57
	v_lshrrev_b32_e32 v83, 8, v57
	v_and_or_b32 v57, v57, 15, 0x4b000000
	s_delay_alu instid0(VALU_DEP_4)
	v_dual_add_f32 v58, 0xcb000008, v58 :: v_dual_add_f32 v35, 0xcb000008, v35
	s_wait_dscnt 0x0
	v_and_or_b32 v84, v67, 15, 0x4b000000
	v_dual_add_f32 v33, 0xcb000008, v33 :: v_dual_add_f32 v36, 0xcb000008, v36
	v_and_or_b32 v61, v61, 15, 0x4b000000
	v_lshrrev_b32_e32 v35, 16, v35
	v_and_or_b32 v83, v83, 15, 0x4b000000
	v_add_f32_e32 v57, 0xcb000008, v57
	v_lshrrev_b32_e32 v58, 16, v58
	v_add_f32_e32 v84, 0xcb000008, v84
	v_lshrrev_b32_e32 v33, 16, v33
	v_and_or_b32 v34, 0xffff0000, v34, v35
	s_delay_alu instid0(VALU_DEP_4) | instskip(SKIP_1) | instid1(VALU_DEP_4)
	v_and_or_b32 v35, 0xffff0000, v57, v58
	v_lshrrev_b32_e32 v57, 4, v67
	v_and_or_b32 v33, 0xffff0000, v36, v33
	v_dual_add_f32 v36, 0xcb000008, v61 :: v_dual_add_f32 v61, 0xcb000008, v83
	v_lshrrev_b32_e32 v83, 12, v67
	v_lshrrev_b32_e32 v58, 8, v67
	v_and_or_b32 v57, v57, 15, 0x4b000000
	v_ashrrev_i32_e32 v67, 16, v67
	v_lshrrev_b32_e32 v36, 16, v36
	v_and_or_b32 v83, v83, 15, 0x4b000000
	v_and_or_b32 v58, v58, 15, 0x4b000000
	v_add_f32_e32 v57, 0xcb000008, v57
	v_lshrrev_b32_e32 v85, 4, v67
	v_lshrrev_b32_e32 v86, 12, v67
	s_delay_alu instid0(VALU_DEP_4) | instskip(NEXT) | instid1(VALU_DEP_4)
	v_dual_add_f32 v83, 0xcb000008, v83 :: v_dual_add_f32 v58, 0xcb000008, v58
	v_lshrrev_b32_e32 v57, 16, v57
	s_delay_alu instid0(VALU_DEP_4) | instskip(SKIP_1) | instid1(VALU_DEP_4)
	v_and_or_b32 v85, v85, 15, 0x4b000000
	v_lshrrev_b32_e32 v87, 8, v67
	v_lshrrev_b32_e32 v88, 16, v83
	v_and_or_b32 v86, v86, 15, 0x4b000000
	v_and_or_b32 v67, v67, 15, 0x4b000000
	v_add_f32_e32 v85, 0xcb000008, v85
	v_and_or_b32 v83, 0xffff0000, v84, v57
	v_and_or_b32 v84, 0xffff0000, v58, v88
	v_lshrrev_b32_e32 v58, 8, v68
	v_and_or_b32 v87, v87, 15, 0x4b000000
	v_dual_add_f32 v86, 0xcb000008, v86 :: v_dual_add_f32 v67, 0xcb000008, v67
	v_lshrrev_b32_e32 v85, 16, v85
	s_delay_alu instid0(VALU_DEP_4) | instskip(NEXT) | instid1(VALU_DEP_4)
	v_and_or_b32 v58, v58, 15, 0x4b000000
	v_add_f32_e32 v87, 0xcb000008, v87
	s_delay_alu instid0(VALU_DEP_4)
	v_lshrrev_b32_e32 v86, 16, v86
	v_lshrrev_b32_e32 v57, 4, v68
	v_and_or_b32 v85, 0xffff0000, v67, v85
	v_and_or_b32 v67, v68, 15, 0x4b000000
	v_add_f32_e32 v58, 0xcb000008, v58
	v_and_or_b32 v36, 0xffff0000, v61, v36
	v_lshrrev_b32_e32 v61, 12, v68
	v_ashrrev_i32_e32 v68, 16, v68
	v_and_or_b32 v86, 0xffff0000, v87, v86
	v_and_or_b32 v57, v57, 15, 0x4b000000
	v_add_f32_e32 v67, 0xcb000008, v67
	v_and_or_b32 v61, v61, 15, 0x4b000000
	v_lshrrev_b32_e32 v87, 4, v68
	v_lshrrev_b32_e32 v88, 12, v68
	v_add_f32_e32 v57, 0xcb000008, v57
	v_lshrrev_b32_e32 v89, 8, v68
	v_add_f32_e32 v61, 0xcb000008, v61
	v_and_or_b32 v87, v87, 15, 0x4b000000
	v_and_or_b32 v88, v88, 15, 0x4b000000
	v_lshrrev_b32_e32 v57, 16, v57
	v_and_or_b32 v68, v68, 15, 0x4b000000
	v_and_or_b32 v89, v89, 15, 0x4b000000
	s_delay_alu instid0(VALU_DEP_4) | instskip(SKIP_1) | instid1(VALU_DEP_3)
	v_dual_add_f32 v87, 0xcb000008, v87 :: v_dual_add_f32 v88, 0xcb000008, v88
	v_lshrrev_b32_e32 v61, 16, v61
	v_dual_add_f32 v68, 0xcb000008, v68 :: v_dual_add_f32 v103, 0xcb000008, v89
	s_delay_alu instid0(VALU_DEP_3)
	v_lshrrev_b32_e32 v90, 16, v87
	v_and_or_b32 v87, 0xffff0000, v67, v57
	v_ashrrev_i32_e32 v67, 16, v69
	v_lshrrev_b32_e32 v104, 16, v88
	v_and_or_b32 v88, 0xffff0000, v58, v61
	v_and_or_b32 v89, 0xffff0000, v68, v90
	v_lshrrev_b32_e32 v57, 4, v69
	v_lshrrev_b32_e32 v58, 8, v69
	;; [unrolled: 1-line block ×3, first 2 shown]
	v_and_or_b32 v68, v69, 15, 0x4b000000
	v_lshrrev_b32_e32 v69, 4, v67
	v_and_or_b32 v57, v57, 15, 0x4b000000
	v_and_or_b32 v90, 0xffff0000, v103, v104
	;; [unrolled: 1-line block ×5, first 2 shown]
	v_add_f32_e32 v57, 0xcb000008, v57
	v_lshrrev_b32_e32 v103, 12, v67
	v_add_f32_e32 v61, 0xcb000008, v61
	v_lshrrev_b32_e32 v104, 8, v67
	v_and_or_b32 v67, v67, 15, 0x4b000000
	v_dual_add_f32 v69, 0xcb000008, v69 :: v_dual_add_f32 v68, 0xcb000008, v68
	v_add_f32_e32 v58, 0xcb000008, v58
	v_lshrrev_b32_e32 v57, 16, v57
	v_lshrrev_b32_e32 v61, 16, v61
	v_and_or_b32 v103, v103, 15, 0x4b000000
	v_and_or_b32 v104, v104, 15, 0x4b000000
	v_add_f32_e32 v105, 0xcb000008, v67
	v_lshrrev_b32_e32 v69, 16, v69
	v_and_or_b32 v67, 0xffff0000, v68, v57
	v_add_f32_e32 v57, 0xcb000008, v103
	v_and_or_b32 v68, 0xffff0000, v58, v61
	v_add_f32_e32 v58, 0xcb000008, v104
	v_and_or_b32 v69, 0xffff0000, v105, v69
	v_lshrrev_b32_e32 v61, 4, v70
	v_lshrrev_b32_e32 v103, 8, v70
	;; [unrolled: 1-line block ×3, first 2 shown]
	v_and_or_b32 v105, v70, 15, 0x4b000000
	v_ashrrev_i32_e32 v70, 16, v70
	v_and_or_b32 v61, v61, 15, 0x4b000000
	v_and_or_b32 v103, v103, 15, 0x4b000000
	;; [unrolled: 1-line block ×3, first 2 shown]
	v_lshrrev_b32_e32 v57, 16, v57
	v_lshrrev_b32_e32 v106, 4, v70
	;; [unrolled: 1-line block ×3, first 2 shown]
	s_delay_alu instid0(VALU_DEP_4) | instskip(SKIP_1) | instid1(VALU_DEP_4)
	v_dual_add_f32 v108, 0xcb000008, v103 :: v_dual_add_f32 v103, 0xcb000008, v104
	v_lshrrev_b32_e32 v104, 8, v70
	v_and_or_b32 v106, v106, 15, 0x4b000000
	s_delay_alu instid0(VALU_DEP_4) | instskip(SKIP_3) | instid1(VALU_DEP_4)
	v_and_or_b32 v107, v107, 15, 0x4b000000
	v_add_f32_e32 v61, 0xcb000008, v61
	v_and_or_b32 v70, v70, 15, 0x4b000000
	v_and_or_b32 v104, v104, 15, 0x4b000000
	v_dual_add_f32 v106, 0xcb000008, v106 :: v_dual_add_f32 v107, 0xcb000008, v107
	v_add_f32_e32 v105, 0xcb000008, v105
	v_lshrrev_b32_e32 v61, 16, v61
	v_lshrrev_b32_e32 v109, 16, v103
	v_dual_add_f32 v110, 0xcb000008, v70 :: v_dual_add_f32 v111, 0xcb000008, v104
	v_lshrrev_b32_e32 v106, 16, v106
	v_lshrrev_b32_e32 v107, 16, v107
	v_and_or_b32 v70, 0xffff0000, v58, v57
	v_and_or_b32 v103, 0xffff0000, v105, v61
	;; [unrolled: 1-line block ×5, first 2 shown]
	; sched_barrier mask(0x00000000)
	s_barrier_signal -1
	s_barrier_wait -1
	; sched_barrier mask(0x00000000)
	v_wmma_f32_16x16x16_bf16 v[1:8], v[71:74], v[37:40], v[1:8]
	s_delay_alu instid0(VALU_DEP_1) | instskip(NEXT) | instid1(VALU_DEP_1)
	v_wmma_f32_16x16x16_bf16 v[1:8], v[75:78], v[41:44], v[1:8]
	v_wmma_f32_16x16x16_bf16 v[1:8], v[79:82], v[45:48], v[1:8]
	s_delay_alu instid0(VALU_DEP_1)
	v_wmma_f32_16x16x16_bf16 v[1:8], v[33:36], v[49:52], v[1:8]
	; sched_barrier mask(0x00000000)
	s_setprio 1
	; sched_barrier mask(0x00000000)
	; sched_barrier mask(0x00000000)
	s_wait_dscnt 0x0
	s_barrier_signal -1
	s_barrier_wait -1
	; sched_barrier mask(0x00000000)
	v_wmma_f32_16x16x16_bf16 v[1:8], v[83:86], v[53:56], v[1:8]
	s_delay_alu instid0(VALU_DEP_1) | instskip(NEXT) | instid1(VALU_DEP_1)
	v_wmma_f32_16x16x16_bf16 v[1:8], v[87:90], v[63:66], v[1:8]
	v_wmma_f32_16x16x16_bf16 v[1:8], v[67:70], v[29:32], v[1:8]
	s_delay_alu instid0(VALU_DEP_1) | instskip(SKIP_2) | instid1(VALU_DEP_1)
	v_wmma_f32_16x16x16_bf16 v[1:8], v[103:106], v[25:28], v[1:8]
	; sched_barrier mask(0x00000000)
	s_setprio 0
	; sched_barrier mask(0x00000000)
	v_lshl_add_u32 v25, v115, 1, v62
	v_lshl_add_u32 v26, v59, 1, v25
	ds_store_b128 v25, v[21:24]
	ds_store_b128 v26, v[17:20] offset:256
	ds_store_b128 v60, v[13:16] offset:4096
	;; [unrolled: 1-line block ×3, first 2 shown]
	s_wait_dscnt 0x0
	s_barrier_signal -1
	s_barrier_wait -1
	ds_load_b128 v[17:20], v102 offset:4096
	ds_load_b128 v[21:24], v94
	ds_load_b128 v[25:28], v95
	;; [unrolled: 1-line block ×8, first 2 shown]
	ds_load_b128 v[45:48], v93 offset:4096
	s_wait_dscnt 0x9
	v_and_or_b32 v49, v17, 15, 0x4b000000
	v_lshrrev_b32_e32 v50, 4, v17
	v_lshrrev_b32_e32 v51, 8, v17
	;; [unrolled: 1-line block ×3, first 2 shown]
	v_ashrrev_i32_e32 v17, 16, v17
	v_and_or_b32 v53, v18, 15, 0x4b000000
	v_and_or_b32 v50, v50, 15, 0x4b000000
	;; [unrolled: 1-line block ×4, first 2 shown]
	v_lshrrev_b32_e32 v58, 4, v17
	s_delay_alu instid0(VALU_DEP_4) | instskip(SKIP_1) | instid1(VALU_DEP_4)
	v_dual_add_f32 v49, 0xcb000008, v49 :: v_dual_add_f32 v50, 0xcb000008, v50
	v_and_or_b32 v57, v17, 15, 0x4b000000
	v_dual_add_f32 v51, 0xcb000008, v51 :: v_dual_add_f32 v52, 0xcb000008, v52
	s_delay_alu instid0(VALU_DEP_4)
	v_and_or_b32 v58, v58, 15, 0x4b000000
	v_lshrrev_b32_e32 v54, 4, v18
	v_lshrrev_b32_e32 v55, 8, v18
	;; [unrolled: 1-line block ×3, first 2 shown]
	v_ashrrev_i32_e32 v18, 16, v18
	v_dual_add_f32 v58, 0xcb000008, v58 :: v_dual_add_f32 v57, 0xcb000008, v57
	v_lshrrev_b32_e32 v50, 16, v50
	v_lshrrev_b32_e32 v52, 16, v52
	;; [unrolled: 1-line block ×3, first 2 shown]
	s_delay_alu instid0(VALU_DEP_4)
	v_lshrrev_b32_e32 v58, 16, v58
	v_lshrrev_b32_e32 v17, 12, v17
	v_and_or_b32 v49, 0xffff0000, v49, v50
	v_and_or_b32 v50, 0xffff0000, v51, v52
	;; [unrolled: 1-line block ×4, first 2 shown]
	v_lshrrev_b32_e32 v56, 4, v18
	v_lshrrev_b32_e32 v57, 12, v18
	v_and_or_b32 v54, v54, 15, 0x4b000000
	v_and_or_b32 v59, v59, 15, 0x4b000000
	;; [unrolled: 1-line block ×3, first 2 shown]
	v_lshrrev_b32_e32 v58, 8, v18
	v_and_or_b32 v56, v56, 15, 0x4b000000
	v_and_or_b32 v57, v57, 15, 0x4b000000
	;; [unrolled: 1-line block ×3, first 2 shown]
	v_dual_add_f32 v17, 0xcb000008, v17 :: v_dual_add_f32 v54, 0xcb000008, v54
	v_dual_add_f32 v59, 0xcb000008, v59 :: v_dual_add_f32 v52, 0xcb000008, v52
	;; [unrolled: 1-line block ×3, first 2 shown]
	v_and_or_b32 v18, v18, 15, 0x4b000000
	v_and_or_b32 v58, v58, 15, 0x4b000000
	v_add_f32_e32 v57, 0xcb000008, v57
	v_lshrrev_b32_e32 v17, 16, v17
	s_delay_alu instid0(VALU_DEP_4)
	v_dual_add_f32 v55, 0xcb000008, v55 :: v_dual_add_f32 v18, 0xcb000008, v18
	v_lshrrev_b32_e32 v54, 16, v54
	v_lshrrev_b32_e32 v60, 16, v52
	v_add_f32_e32 v58, 0xcb000008, v58
	v_lshrrev_b32_e32 v56, 16, v56
	v_lshrrev_b32_e32 v57, 16, v57
	v_and_or_b32 v52, 0xffff0000, v59, v17
	v_and_or_b32 v53, 0xffff0000, v53, v54
	;; [unrolled: 1-line block ×5, first 2 shown]
	v_lshrrev_b32_e32 v17, 4, v19
	v_lshrrev_b32_e32 v18, 8, v19
	v_lshrrev_b32_e32 v57, 12, v19
	v_and_or_b32 v58, v19, 15, 0x4b000000
	v_ashrrev_i32_e32 v19, 16, v19
	v_and_or_b32 v17, v17, 15, 0x4b000000
	v_and_or_b32 v18, v18, 15, 0x4b000000
	;; [unrolled: 1-line block ×3, first 2 shown]
	v_add_f32_e32 v58, 0xcb000008, v58
	v_lshrrev_b32_e32 v59, 4, v19
	v_add_f32_e32 v17, 0xcb000008, v17
	v_lshrrev_b32_e32 v60, 12, v19
	v_dual_add_f32 v18, 0xcb000008, v18 :: v_dual_add_f32 v57, 0xcb000008, v57
	s_delay_alu instid0(VALU_DEP_4) | instskip(SKIP_1) | instid1(VALU_DEP_4)
	v_and_or_b32 v59, v59, 15, 0x4b000000
	v_lshrrev_b32_e32 v61, 8, v19
	v_and_or_b32 v60, v60, 15, 0x4b000000
	v_lshrrev_b32_e32 v17, 16, v17
	v_lshrrev_b32_e32 v62, 16, v57
	v_add_f32_e32 v59, 0xcb000008, v59
	v_and_or_b32 v61, v61, 15, 0x4b000000
	v_add_f32_e32 v60, 0xcb000008, v60
	v_and_or_b32 v57, 0xffff0000, v58, v17
	v_and_or_b32 v58, 0xffff0000, v18, v62
	v_lshrrev_b32_e32 v18, 8, v20
	v_and_or_b32 v19, v19, 15, 0x4b000000
	v_lshrrev_b32_e32 v60, 16, v60
	v_lshrrev_b32_e32 v59, 16, v59
	;; [unrolled: 1-line block ×3, first 2 shown]
	v_and_or_b32 v18, v18, 15, 0x4b000000
	v_add_f32_e32 v61, 0xcb000008, v61
	v_add_f32_e32 v19, 0xcb000008, v19
	s_wait_dscnt 0x0
	v_and_or_b32 v65, v45, 15, 0x4b000000
	v_and_or_b32 v17, v17, 15, 0x4b000000
	v_add_f32_e32 v18, 0xcb000008, v18
	v_and_or_b32 v60, 0xffff0000, v61, v60
	v_ashrrev_i32_e32 v61, 16, v20
	v_and_or_b32 v59, 0xffff0000, v19, v59
	v_lshrrev_b32_e32 v19, 12, v20
	v_and_or_b32 v20, v20, 15, 0x4b000000
	v_and_or_b32 v74, v48, 15, 0x4b000000
	v_lshrrev_b32_e32 v62, 4, v61
	v_lshrrev_b32_e32 v63, 12, v61
	v_and_or_b32 v19, v19, 15, 0x4b000000
	v_lshrrev_b32_e32 v64, 8, v61
	v_and_or_b32 v61, v61, 15, 0x4b000000
	v_and_or_b32 v62, v62, 15, 0x4b000000
	v_add_f32_e32 v17, 0xcb000008, v17
	v_dual_add_f32 v19, 0xcb000008, v19 :: v_dual_add_f32 v20, 0xcb000008, v20
	v_and_or_b32 v63, v63, 15, 0x4b000000
	s_delay_alu instid0(VALU_DEP_4) | instskip(NEXT) | instid1(VALU_DEP_4)
	v_add_f32_e32 v62, 0xcb000008, v62
	v_lshrrev_b32_e32 v17, 16, v17
	s_delay_alu instid0(VALU_DEP_4)
	v_lshrrev_b32_e32 v19, 16, v19
	v_and_or_b32 v64, v64, 15, 0x4b000000
	v_add_f32_e32 v61, 0xcb000008, v61
	v_lshrrev_b32_e32 v62, 16, v62
	v_and_or_b32 v17, 0xffff0000, v20, v17
	v_add_f32_e32 v20, 0xcb000008, v63
	v_and_or_b32 v18, 0xffff0000, v18, v19
	v_add_f32_e32 v63, 0xcb000008, v64
	v_and_or_b32 v19, 0xffff0000, v61, v62
	v_lshrrev_b32_e32 v61, 4, v45
	v_lshrrev_b32_e32 v62, 8, v45
	;; [unrolled: 1-line block ×3, first 2 shown]
	v_ashrrev_i32_e32 v45, 16, v45
	v_lshrrev_b32_e32 v20, 16, v20
	v_and_or_b32 v61, v61, 15, 0x4b000000
	v_and_or_b32 v62, v62, 15, 0x4b000000
	;; [unrolled: 1-line block ×3, first 2 shown]
	v_lshrrev_b32_e32 v68, 8, v45
	v_add_f32_e32 v65, 0xcb000008, v65
	v_lshrrev_b32_e32 v66, 4, v45
	v_lshrrev_b32_e32 v67, 12, v45
	v_add_f32_e32 v64, 0xcb000008, v64
	v_and_or_b32 v68, v68, 15, 0x4b000000
	v_add_f32_e32 v61, 0xcb000008, v61
	v_and_or_b32 v66, v66, 15, 0x4b000000
	v_and_or_b32 v67, v67, 15, 0x4b000000
	;; [unrolled: 1-line block ×3, first 2 shown]
	v_add_f32_e32 v68, 0xcb000008, v68
	v_lshrrev_b32_e32 v61, 16, v61
	v_add_f32_e32 v66, 0xcb000008, v66
	v_add_f32_e32 v62, 0xcb000008, v62
	v_lshrrev_b32_e32 v64, 16, v64
	v_add_f32_e32 v45, 0xcb000008, v45
	v_and_or_b32 v61, 0xffff0000, v65, v61
	v_lshrrev_b32_e32 v65, 8, v46
	v_lshrrev_b32_e32 v66, 16, v66
	v_and_or_b32 v20, 0xffff0000, v63, v20
	v_and_or_b32 v62, 0xffff0000, v62, v64
	v_add_f32_e32 v74, 0xcb000008, v74
	v_and_or_b32 v65, v65, 15, 0x4b000000
	v_add_f32_e32 v67, 0xcb000008, v67
	v_and_or_b32 v63, 0xffff0000, v45, v66
	v_lshrrev_b32_e32 v45, 4, v46
	v_lshrrev_b32_e32 v66, 12, v46
	v_add_f32_e32 v70, 0xcb000008, v65
	v_lshrrev_b32_e32 v67, 16, v67
	s_delay_alu instid0(VALU_DEP_4) | instskip(NEXT) | instid1(VALU_DEP_4)
	v_and_or_b32 v45, v45, 15, 0x4b000000
	v_and_or_b32 v66, v66, 15, 0x4b000000
	s_delay_alu instid0(VALU_DEP_3) | instskip(SKIP_2) | instid1(VALU_DEP_4)
	v_and_or_b32 v64, 0xffff0000, v68, v67
	v_and_or_b32 v67, v46, 15, 0x4b000000
	v_ashrrev_i32_e32 v46, 16, v46
	v_add_f32_e32 v65, 0xcb000008, v66
	s_delay_alu instid0(VALU_DEP_2) | instskip(SKIP_1) | instid1(VALU_DEP_3)
	v_lshrrev_b32_e32 v68, 4, v46
	v_lshrrev_b32_e32 v69, 12, v46
	;; [unrolled: 1-line block ×3, first 2 shown]
	s_delay_alu instid0(VALU_DEP_3)
	v_and_or_b32 v66, v68, 15, 0x4b000000
	v_lshrrev_b32_e32 v68, 8, v46
	v_and_or_b32 v46, v46, 15, 0x4b000000
	v_add_f32_e32 v67, 0xcb000008, v67
	v_and_or_b32 v69, v69, 15, 0x4b000000
	v_add_f32_e32 v66, 0xcb000008, v66
	v_and_or_b32 v68, v68, 15, 0x4b000000
	v_dual_add_f32 v45, 0xcb000008, v45 :: v_dual_add_f32 v46, 0xcb000008, v46
	s_delay_alu instid0(VALU_DEP_3) | instskip(NEXT) | instid1(VALU_DEP_3)
	v_lshrrev_b32_e32 v72, 16, v66
	v_add_f32_e32 v68, 0xcb000008, v68
	s_delay_alu instid0(VALU_DEP_3) | instskip(SKIP_2) | instid1(VALU_DEP_3)
	v_lshrrev_b32_e32 v45, 16, v45
	v_and_or_b32 v66, 0xffff0000, v70, v71
	v_ashrrev_i32_e32 v70, 16, v47
	v_and_or_b32 v65, 0xffff0000, v67, v45
	v_and_or_b32 v67, 0xffff0000, v46, v72
	v_lshrrev_b32_e32 v46, 8, v47
	v_lshrrev_b32_e32 v45, 4, v47
	;; [unrolled: 1-line block ×5, first 2 shown]
	v_and_or_b32 v46, v46, 15, 0x4b000000
	v_add_f32_e32 v69, 0xcb000008, v69
	v_and_or_b32 v45, v45, 15, 0x4b000000
	v_and_or_b32 v71, v71, 15, 0x4b000000
	;; [unrolled: 1-line block ×3, first 2 shown]
	v_add_f32_e32 v46, 0xcb000008, v46
	v_lshrrev_b32_e32 v69, 16, v69
	v_add_f32_e32 v45, 0xcb000008, v45
	s_delay_alu instid0(VALU_DEP_4) | instskip(SKIP_1) | instid1(VALU_DEP_4)
	v_dual_add_f32 v71, 0xcb000008, v71 :: v_dual_add_f32 v70, 0xcb000008, v70
	v_and_or_b32 v72, v72, 15, 0x4b000000
	v_and_or_b32 v68, 0xffff0000, v68, v69
	v_lshrrev_b32_e32 v69, 12, v47
	v_and_or_b32 v47, v47, 15, 0x4b000000
	v_lshrrev_b32_e32 v45, 16, v45
	v_lshrrev_b32_e32 v71, 16, v71
	v_and_or_b32 v73, v73, 15, 0x4b000000
	v_and_or_b32 v69, v69, 15, 0x4b000000
	v_dual_add_f32 v47, 0xcb000008, v47 :: v_dual_add_f32 v72, 0xcb000008, v72
	s_delay_alu instid0(VALU_DEP_1) | instskip(SKIP_2) | instid1(VALU_DEP_4)
	v_and_or_b32 v45, 0xffff0000, v47, v45
	v_and_or_b32 v47, 0xffff0000, v70, v71
	v_lshrrev_b32_e32 v70, 4, v48
	v_lshrrev_b32_e32 v71, 16, v72
	;; [unrolled: 1-line block ×3, first 2 shown]
	s_delay_alu instid0(VALU_DEP_3) | instskip(SKIP_1) | instid1(VALU_DEP_3)
	v_and_or_b32 v70, v70, 15, 0x4b000000
	v_add_f32_e32 v69, 0xcb000008, v69
	v_and_or_b32 v72, v72, 15, 0x4b000000
	s_delay_alu instid0(VALU_DEP_3) | instskip(NEXT) | instid1(VALU_DEP_3)
	v_add_f32_e32 v70, 0xcb000008, v70
	v_lshrrev_b32_e32 v69, 16, v69
	s_delay_alu instid0(VALU_DEP_3) | instskip(NEXT) | instid1(VALU_DEP_3)
	v_add_f32_e32 v72, 0xcb000008, v72
	v_lshrrev_b32_e32 v70, 16, v70
	s_delay_alu instid0(VALU_DEP_3) | instskip(SKIP_3) | instid1(VALU_DEP_2)
	v_and_or_b32 v46, 0xffff0000, v46, v69
	v_add_f32_e32 v69, 0xcb000008, v73
	v_lshrrev_b32_e32 v73, 12, v48
	v_ashrrev_i32_e32 v48, 16, v48
	v_and_or_b32 v73, v73, 15, 0x4b000000
	s_delay_alu instid0(VALU_DEP_2)
	v_lshrrev_b32_e32 v75, 4, v48
	v_lshrrev_b32_e32 v76, 12, v48
	;; [unrolled: 1-line block ×3, first 2 shown]
	v_and_or_b32 v48, v48, 15, 0x4b000000
	v_add_f32_e32 v73, 0xcb000008, v73
	v_and_or_b32 v75, v75, 15, 0x4b000000
	v_and_or_b32 v76, v76, 15, 0x4b000000
	;; [unrolled: 1-line block ×3, first 2 shown]
	v_add_f32_e32 v78, 0xcb000008, v48
	v_lshrrev_b32_e32 v73, 16, v73
	s_delay_alu instid0(VALU_DEP_4) | instskip(NEXT) | instid1(VALU_DEP_4)
	v_dual_add_f32 v75, 0xcb000008, v75 :: v_dual_add_f32 v76, 0xcb000008, v76
	v_add_f32_e32 v77, 0xcb000008, v77
	v_and_or_b32 v48, 0xffff0000, v69, v71
	v_and_or_b32 v69, 0xffff0000, v74, v70
	s_delay_alu instid0(VALU_DEP_4) | instskip(SKIP_2) | instid1(VALU_DEP_3)
	v_lshrrev_b32_e32 v75, 16, v75
	v_lshrrev_b32_e32 v76, 16, v76
	v_and_or_b32 v70, 0xffff0000, v72, v73
	v_and_or_b32 v71, 0xffff0000, v78, v75
	s_delay_alu instid0(VALU_DEP_3) | instskip(SKIP_3) | instid1(VALU_DEP_1)
	v_and_or_b32 v72, 0xffff0000, v77, v76
	; sched_barrier mask(0x00000000)
	s_barrier_signal -1
	s_barrier_wait -1
	; sched_barrier mask(0x00000000)
	v_wmma_f32_16x16x16_bf16 v[1:8], v[49:52], v[21:24], v[1:8]
	v_wmma_f32_16x16x16_bf16 v[1:8], v[53:56], v[25:28], v[1:8]
	s_delay_alu instid0(VALU_DEP_1) | instskip(NEXT) | instid1(VALU_DEP_1)
	v_wmma_f32_16x16x16_bf16 v[1:8], v[57:60], v[29:32], v[1:8]
	v_wmma_f32_16x16x16_bf16 v[1:8], v[17:20], v[33:36], v[1:8]
	; sched_barrier mask(0x00000000)
	s_setprio 1
	; sched_barrier mask(0x00000000)
	; sched_barrier mask(0x00000000)
	s_wait_dscnt 0x0
	s_barrier_signal -1
	s_barrier_wait -1
	; sched_barrier mask(0x00000000)
	v_wmma_f32_16x16x16_bf16 v[1:8], v[61:64], v[37:40], v[1:8]
	s_delay_alu instid0(VALU_DEP_1) | instskip(NEXT) | instid1(VALU_DEP_1)
	v_wmma_f32_16x16x16_bf16 v[1:8], v[65:68], v[41:44], v[1:8]
	v_wmma_f32_16x16x16_bf16 v[1:8], v[45:48], v[13:16], v[1:8]
	s_delay_alu instid0(VALU_DEP_1) | instskip(SKIP_1) | instid1(VALU_DEP_1)
	v_wmma_f32_16x16x16_bf16 v[1:8], v[69:72], v[9:12], v[1:8]
	; sched_barrier mask(0x00000000)
	s_setprio 0
	; sched_barrier mask(0x00000000)
	v_bfe_u32 v12, v1, 16, 1
	v_or_b32_e32 v13, 0x400000, v1
	s_delay_alu instid0(VALU_DEP_3)
	v_bfe_u32 v16, v3, 16, 1
	v_cmp_u_f32_e32 vcc_lo, v1, v1
	v_bfe_u32 v20, v5, 16, 1
	v_add3_u32 v12, v12, v1, 0x7fff
	v_lshlrev_b32_e32 v9, 3, v0
	v_lshlrev_b32_e32 v0, 7, v0
	v_add3_u32 v16, v16, v3, 0x7fff
	v_or_b32_e32 v18, 0x400000, v3
	v_cndmask_b32_e32 v12, v12, v13, vcc_lo
	v_cmp_u_f32_e32 vcc_lo, v3, v3
	v_add3_u32 v3, v20, v5, 0x7fff
	v_and_b32_e32 v14, 56, v9
	v_lshl_or_b32 v11, s15, 4, v91
	s_wait_alu 0xfffd
	v_dual_cndmask_b32 v16, v16, v18 :: v_dual_and_b32 v17, 0x780, v0
	v_or_b32_e32 v19, 0x400000, v4
	v_or_b32_e32 v9, s6, v14
	v_cmp_u_f32_e32 vcc_lo, v4, v4
	v_and_b32_e32 v10, 56, v92
	v_bfe_u32 v18, v6, 16, 1
	v_bfe_u32 v20, v8, 16, 1
	;; [unrolled: 1-line block ×3, first 2 shown]
	v_or_b32_e32 v21, 0x400000, v6
	v_mad_co_u64_u32 v[0:1], null, v11, s13, v[9:10]
	v_bfe_u32 v1, v4, 16, 1
	s_delay_alu instid0(VALU_DEP_4)
	v_add3_u32 v13, v15, v2, 0x7fff
	v_or_b32_e32 v15, 0x400000, v2
	v_cmp_gt_i32_e64 s0, s5, v9
	s_wait_dscnt 0x0
	v_add3_u32 v1, v1, v4, 0x7fff
	v_or_b32_e32 v4, 0x400000, v5
	s_barrier_signal -1
	s_barrier_wait -1
	s_wait_alu 0xfffd
	v_cndmask_b32_e32 v1, v1, v19, vcc_lo
	v_bfe_u32 v19, v7, 16, 1
	v_cmp_u_f32_e32 vcc_lo, v5, v5
	v_lshl_or_b32 v10, v10, 1, v17
	s_delay_alu instid0(VALU_DEP_3)
	v_add3_u32 v5, v19, v7, 0x7fff
	s_wait_alu 0xfffd
	v_cndmask_b32_e32 v3, v3, v4, vcc_lo
	v_add3_u32 v4, v18, v6, 0x7fff
	v_or_b32_e32 v18, 0x400000, v7
	v_cmp_u_f32_e32 vcc_lo, v7, v7
	v_add3_u32 v19, v20, v8, 0x7fff
	v_or_b32_e32 v20, 0x400000, v8
	s_wait_alu 0xfffd
	v_cndmask_b32_e32 v5, v5, v18, vcc_lo
	v_cmp_u_f32_e32 vcc_lo, v8, v8
	s_wait_alu 0xfffd
	v_cndmask_b32_e32 v7, v19, v20, vcc_lo
	v_cmp_u_f32_e32 vcc_lo, v6, v6
	;; [unrolled: 3-line block ×3, first 2 shown]
	v_perm_b32 v4, v7, v5, 0x7060302
	v_perm_b32 v2, v1, v16, 0x7060302
	v_lshl_or_b32 v5, v91, 6, v14
	v_perm_b32 v3, v6, v3, 0x7060302
	s_wait_alu 0xfffd
	v_cndmask_b32_e32 v8, v13, v15, vcc_lo
	v_cmp_gt_i32_e32 vcc_lo, s4, v11
	s_delay_alu instid0(VALU_DEP_2)
	v_perm_b32 v1, v8, v12, 0x7060302
	s_and_b32 s0, vcc_lo, s0
	ds_store_b128 v10, v[1:4]
	v_ashrrev_i32_e32 v1, 31, v0
	v_lshlrev_b32_e32 v2, 1, v5
	s_wait_dscnt 0x0
	s_barrier_signal -1
	s_barrier_wait -1
	s_and_saveexec_b32 s1, s0
	s_cbranch_execz .LBB7_15
; %bb.14:
	ds_load_b64 v[3:4], v2
	v_lshlrev_b64_e32 v[5:6], 1, v[0:1]
	s_delay_alu instid0(VALU_DEP_1) | instskip(NEXT) | instid1(VALU_DEP_1)
	v_add_co_u32 v5, s0, s2, v5
	v_add_co_ci_u32_e64 v6, null, s3, v6, s0
	s_wait_dscnt 0x0
	s_clause 0x1
	global_atomic_pk_add_bf16 v[5:6], v3, off scope:SCOPE_DEV
	global_atomic_pk_add_bf16 v[5:6], v4, off offset:4 scope:SCOPE_DEV
.LBB7_15:
	s_or_b32 exec_lo, exec_lo, s1
	v_or_b32_e32 v3, 4, v9
	s_delay_alu instid0(VALU_DEP_1)
	v_cmp_gt_i32_e64 s0, s5, v3
	s_and_b32 s0, vcc_lo, s0
	s_wait_alu 0xfffe
	s_and_saveexec_b32 s1, s0
	s_cbranch_execz .LBB7_17
; %bb.16:
	ds_load_b64 v[2:3], v2 offset:8
	v_lshlrev_b64_e32 v[0:1], 1, v[0:1]
	s_delay_alu instid0(VALU_DEP_1) | instskip(SKIP_1) | instid1(VALU_DEP_2)
	v_add_co_u32 v0, vcc_lo, s2, v0
	s_wait_alu 0xfffd
	v_add_co_ci_u32_e64 v1, null, s3, v1, vcc_lo
	s_wait_dscnt 0x0
	s_clause 0x1
	global_atomic_pk_add_bf16 v[0:1], v2, off offset:8 scope:SCOPE_DEV
	global_atomic_pk_add_bf16 v[0:1], v3, off offset:12 scope:SCOPE_DEV
.LBB7_17:
	s_nop 0
	s_sendmsg sendmsg(MSG_DEALLOC_VGPRS)
	s_endpgm
	.section	.rodata,"a",@progbits
	.p2align	6, 0x0
	.amdhsa_kernel _ZN2ck27kernel_gemm_xdl_cshuffle_v3INS_28GridwiseGemm_xdl_cshuffle_v3INS_13tensor_layout4gemm8RowMajorENS3_11ColumnMajorES4_DF16bNS_7pk_i4_tEfDF16bDF16bNS_16tensor_operation12element_wise11PassThroughES9_S9_LNS7_6device18GemmSpecializationE0ELi128ELi16ELi64ELi128ELi8ELi32ELi16ELi16ELi1ELi1ENS_8SequenceIJLi16ELi8ELi1EEEENSC_IJLi1ELi0ELi2EEEESE_Li2ELi8ELi8ELb0ELi0ENSC_IJLi4ELi32ELi1EEEESE_SE_Li2ELi32ELi32ELb0ELi0ELi1ELi1ENSC_IJLi1ELi16ELi1ELi8EEEELi4ELNS_26BlockGemmPipelineSchedulerE1ELNS_24BlockGemmPipelineVersionE1EDF16bDF16bLb0ELb1ELb0ELi0ELb0EEELb1ELNS_25InMemoryDataOperationEnumE1ELi2ELNS_10TailNumberE3EEEvNT_8ArgumentE
		.amdhsa_group_segment_fixed_size 8192
		.amdhsa_private_segment_fixed_size 0
		.amdhsa_kernarg_size 112
		.amdhsa_user_sgpr_count 2
		.amdhsa_user_sgpr_dispatch_ptr 0
		.amdhsa_user_sgpr_queue_ptr 0
		.amdhsa_user_sgpr_kernarg_segment_ptr 1
		.amdhsa_user_sgpr_dispatch_id 0
		.amdhsa_user_sgpr_private_segment_size 0
		.amdhsa_wavefront_size32 1
		.amdhsa_uses_dynamic_stack 0
		.amdhsa_enable_private_segment 0
		.amdhsa_system_sgpr_workgroup_id_x 1
		.amdhsa_system_sgpr_workgroup_id_y 0
		.amdhsa_system_sgpr_workgroup_id_z 1
		.amdhsa_system_sgpr_workgroup_info 0
		.amdhsa_system_vgpr_workitem_id 0
		.amdhsa_next_free_vgpr 148
		.amdhsa_next_free_sgpr 29
		.amdhsa_reserve_vcc 1
		.amdhsa_float_round_mode_32 0
		.amdhsa_float_round_mode_16_64 0
		.amdhsa_float_denorm_mode_32 3
		.amdhsa_float_denorm_mode_16_64 3
		.amdhsa_fp16_overflow 0
		.amdhsa_workgroup_processor_mode 1
		.amdhsa_memory_ordered 1
		.amdhsa_forward_progress 1
		.amdhsa_inst_pref_size 116
		.amdhsa_round_robin_scheduling 0
		.amdhsa_exception_fp_ieee_invalid_op 0
		.amdhsa_exception_fp_denorm_src 0
		.amdhsa_exception_fp_ieee_div_zero 0
		.amdhsa_exception_fp_ieee_overflow 0
		.amdhsa_exception_fp_ieee_underflow 0
		.amdhsa_exception_fp_ieee_inexact 0
		.amdhsa_exception_int_div_zero 0
	.end_amdhsa_kernel
	.section	.text._ZN2ck27kernel_gemm_xdl_cshuffle_v3INS_28GridwiseGemm_xdl_cshuffle_v3INS_13tensor_layout4gemm8RowMajorENS3_11ColumnMajorES4_DF16bNS_7pk_i4_tEfDF16bDF16bNS_16tensor_operation12element_wise11PassThroughES9_S9_LNS7_6device18GemmSpecializationE0ELi128ELi16ELi64ELi128ELi8ELi32ELi16ELi16ELi1ELi1ENS_8SequenceIJLi16ELi8ELi1EEEENSC_IJLi1ELi0ELi2EEEESE_Li2ELi8ELi8ELb0ELi0ENSC_IJLi4ELi32ELi1EEEESE_SE_Li2ELi32ELi32ELb0ELi0ELi1ELi1ENSC_IJLi1ELi16ELi1ELi8EEEELi4ELNS_26BlockGemmPipelineSchedulerE1ELNS_24BlockGemmPipelineVersionE1EDF16bDF16bLb0ELb1ELb0ELi0ELb0EEELb1ELNS_25InMemoryDataOperationEnumE1ELi2ELNS_10TailNumberE3EEEvNT_8ArgumentE,"axG",@progbits,_ZN2ck27kernel_gemm_xdl_cshuffle_v3INS_28GridwiseGemm_xdl_cshuffle_v3INS_13tensor_layout4gemm8RowMajorENS3_11ColumnMajorES4_DF16bNS_7pk_i4_tEfDF16bDF16bNS_16tensor_operation12element_wise11PassThroughES9_S9_LNS7_6device18GemmSpecializationE0ELi128ELi16ELi64ELi128ELi8ELi32ELi16ELi16ELi1ELi1ENS_8SequenceIJLi16ELi8ELi1EEEENSC_IJLi1ELi0ELi2EEEESE_Li2ELi8ELi8ELb0ELi0ENSC_IJLi4ELi32ELi1EEEESE_SE_Li2ELi32ELi32ELb0ELi0ELi1ELi1ENSC_IJLi1ELi16ELi1ELi8EEEELi4ELNS_26BlockGemmPipelineSchedulerE1ELNS_24BlockGemmPipelineVersionE1EDF16bDF16bLb0ELb1ELb0ELi0ELb0EEELb1ELNS_25InMemoryDataOperationEnumE1ELi2ELNS_10TailNumberE3EEEvNT_8ArgumentE,comdat
.Lfunc_end7:
	.size	_ZN2ck27kernel_gemm_xdl_cshuffle_v3INS_28GridwiseGemm_xdl_cshuffle_v3INS_13tensor_layout4gemm8RowMajorENS3_11ColumnMajorES4_DF16bNS_7pk_i4_tEfDF16bDF16bNS_16tensor_operation12element_wise11PassThroughES9_S9_LNS7_6device18GemmSpecializationE0ELi128ELi16ELi64ELi128ELi8ELi32ELi16ELi16ELi1ELi1ENS_8SequenceIJLi16ELi8ELi1EEEENSC_IJLi1ELi0ELi2EEEESE_Li2ELi8ELi8ELb0ELi0ENSC_IJLi4ELi32ELi1EEEESE_SE_Li2ELi32ELi32ELb0ELi0ELi1ELi1ENSC_IJLi1ELi16ELi1ELi8EEEELi4ELNS_26BlockGemmPipelineSchedulerE1ELNS_24BlockGemmPipelineVersionE1EDF16bDF16bLb0ELb1ELb0ELi0ELb0EEELb1ELNS_25InMemoryDataOperationEnumE1ELi2ELNS_10TailNumberE3EEEvNT_8ArgumentE, .Lfunc_end7-_ZN2ck27kernel_gemm_xdl_cshuffle_v3INS_28GridwiseGemm_xdl_cshuffle_v3INS_13tensor_layout4gemm8RowMajorENS3_11ColumnMajorES4_DF16bNS_7pk_i4_tEfDF16bDF16bNS_16tensor_operation12element_wise11PassThroughES9_S9_LNS7_6device18GemmSpecializationE0ELi128ELi16ELi64ELi128ELi8ELi32ELi16ELi16ELi1ELi1ENS_8SequenceIJLi16ELi8ELi1EEEENSC_IJLi1ELi0ELi2EEEESE_Li2ELi8ELi8ELb0ELi0ENSC_IJLi4ELi32ELi1EEEESE_SE_Li2ELi32ELi32ELb0ELi0ELi1ELi1ENSC_IJLi1ELi16ELi1ELi8EEEELi4ELNS_26BlockGemmPipelineSchedulerE1ELNS_24BlockGemmPipelineVersionE1EDF16bDF16bLb0ELb1ELb0ELi0ELb0EEELb1ELNS_25InMemoryDataOperationEnumE1ELi2ELNS_10TailNumberE3EEEvNT_8ArgumentE
                                        ; -- End function
	.set _ZN2ck27kernel_gemm_xdl_cshuffle_v3INS_28GridwiseGemm_xdl_cshuffle_v3INS_13tensor_layout4gemm8RowMajorENS3_11ColumnMajorES4_DF16bNS_7pk_i4_tEfDF16bDF16bNS_16tensor_operation12element_wise11PassThroughES9_S9_LNS7_6device18GemmSpecializationE0ELi128ELi16ELi64ELi128ELi8ELi32ELi16ELi16ELi1ELi1ENS_8SequenceIJLi16ELi8ELi1EEEENSC_IJLi1ELi0ELi2EEEESE_Li2ELi8ELi8ELb0ELi0ENSC_IJLi4ELi32ELi1EEEESE_SE_Li2ELi32ELi32ELb0ELi0ELi1ELi1ENSC_IJLi1ELi16ELi1ELi8EEEELi4ELNS_26BlockGemmPipelineSchedulerE1ELNS_24BlockGemmPipelineVersionE1EDF16bDF16bLb0ELb1ELb0ELi0ELb0EEELb1ELNS_25InMemoryDataOperationEnumE1ELi2ELNS_10TailNumberE3EEEvNT_8ArgumentE.num_vgpr, 148
	.set _ZN2ck27kernel_gemm_xdl_cshuffle_v3INS_28GridwiseGemm_xdl_cshuffle_v3INS_13tensor_layout4gemm8RowMajorENS3_11ColumnMajorES4_DF16bNS_7pk_i4_tEfDF16bDF16bNS_16tensor_operation12element_wise11PassThroughES9_S9_LNS7_6device18GemmSpecializationE0ELi128ELi16ELi64ELi128ELi8ELi32ELi16ELi16ELi1ELi1ENS_8SequenceIJLi16ELi8ELi1EEEENSC_IJLi1ELi0ELi2EEEESE_Li2ELi8ELi8ELb0ELi0ENSC_IJLi4ELi32ELi1EEEESE_SE_Li2ELi32ELi32ELb0ELi0ELi1ELi1ENSC_IJLi1ELi16ELi1ELi8EEEELi4ELNS_26BlockGemmPipelineSchedulerE1ELNS_24BlockGemmPipelineVersionE1EDF16bDF16bLb0ELb1ELb0ELi0ELb0EEELb1ELNS_25InMemoryDataOperationEnumE1ELi2ELNS_10TailNumberE3EEEvNT_8ArgumentE.num_agpr, 0
	.set _ZN2ck27kernel_gemm_xdl_cshuffle_v3INS_28GridwiseGemm_xdl_cshuffle_v3INS_13tensor_layout4gemm8RowMajorENS3_11ColumnMajorES4_DF16bNS_7pk_i4_tEfDF16bDF16bNS_16tensor_operation12element_wise11PassThroughES9_S9_LNS7_6device18GemmSpecializationE0ELi128ELi16ELi64ELi128ELi8ELi32ELi16ELi16ELi1ELi1ENS_8SequenceIJLi16ELi8ELi1EEEENSC_IJLi1ELi0ELi2EEEESE_Li2ELi8ELi8ELb0ELi0ENSC_IJLi4ELi32ELi1EEEESE_SE_Li2ELi32ELi32ELb0ELi0ELi1ELi1ENSC_IJLi1ELi16ELi1ELi8EEEELi4ELNS_26BlockGemmPipelineSchedulerE1ELNS_24BlockGemmPipelineVersionE1EDF16bDF16bLb0ELb1ELb0ELi0ELb0EEELb1ELNS_25InMemoryDataOperationEnumE1ELi2ELNS_10TailNumberE3EEEvNT_8ArgumentE.numbered_sgpr, 29
	.set _ZN2ck27kernel_gemm_xdl_cshuffle_v3INS_28GridwiseGemm_xdl_cshuffle_v3INS_13tensor_layout4gemm8RowMajorENS3_11ColumnMajorES4_DF16bNS_7pk_i4_tEfDF16bDF16bNS_16tensor_operation12element_wise11PassThroughES9_S9_LNS7_6device18GemmSpecializationE0ELi128ELi16ELi64ELi128ELi8ELi32ELi16ELi16ELi1ELi1ENS_8SequenceIJLi16ELi8ELi1EEEENSC_IJLi1ELi0ELi2EEEESE_Li2ELi8ELi8ELb0ELi0ENSC_IJLi4ELi32ELi1EEEESE_SE_Li2ELi32ELi32ELb0ELi0ELi1ELi1ENSC_IJLi1ELi16ELi1ELi8EEEELi4ELNS_26BlockGemmPipelineSchedulerE1ELNS_24BlockGemmPipelineVersionE1EDF16bDF16bLb0ELb1ELb0ELi0ELb0EEELb1ELNS_25InMemoryDataOperationEnumE1ELi2ELNS_10TailNumberE3EEEvNT_8ArgumentE.num_named_barrier, 0
	.set _ZN2ck27kernel_gemm_xdl_cshuffle_v3INS_28GridwiseGemm_xdl_cshuffle_v3INS_13tensor_layout4gemm8RowMajorENS3_11ColumnMajorES4_DF16bNS_7pk_i4_tEfDF16bDF16bNS_16tensor_operation12element_wise11PassThroughES9_S9_LNS7_6device18GemmSpecializationE0ELi128ELi16ELi64ELi128ELi8ELi32ELi16ELi16ELi1ELi1ENS_8SequenceIJLi16ELi8ELi1EEEENSC_IJLi1ELi0ELi2EEEESE_Li2ELi8ELi8ELb0ELi0ENSC_IJLi4ELi32ELi1EEEESE_SE_Li2ELi32ELi32ELb0ELi0ELi1ELi1ENSC_IJLi1ELi16ELi1ELi8EEEELi4ELNS_26BlockGemmPipelineSchedulerE1ELNS_24BlockGemmPipelineVersionE1EDF16bDF16bLb0ELb1ELb0ELi0ELb0EEELb1ELNS_25InMemoryDataOperationEnumE1ELi2ELNS_10TailNumberE3EEEvNT_8ArgumentE.private_seg_size, 0
	.set _ZN2ck27kernel_gemm_xdl_cshuffle_v3INS_28GridwiseGemm_xdl_cshuffle_v3INS_13tensor_layout4gemm8RowMajorENS3_11ColumnMajorES4_DF16bNS_7pk_i4_tEfDF16bDF16bNS_16tensor_operation12element_wise11PassThroughES9_S9_LNS7_6device18GemmSpecializationE0ELi128ELi16ELi64ELi128ELi8ELi32ELi16ELi16ELi1ELi1ENS_8SequenceIJLi16ELi8ELi1EEEENSC_IJLi1ELi0ELi2EEEESE_Li2ELi8ELi8ELb0ELi0ENSC_IJLi4ELi32ELi1EEEESE_SE_Li2ELi32ELi32ELb0ELi0ELi1ELi1ENSC_IJLi1ELi16ELi1ELi8EEEELi4ELNS_26BlockGemmPipelineSchedulerE1ELNS_24BlockGemmPipelineVersionE1EDF16bDF16bLb0ELb1ELb0ELi0ELb0EEELb1ELNS_25InMemoryDataOperationEnumE1ELi2ELNS_10TailNumberE3EEEvNT_8ArgumentE.uses_vcc, 1
	.set _ZN2ck27kernel_gemm_xdl_cshuffle_v3INS_28GridwiseGemm_xdl_cshuffle_v3INS_13tensor_layout4gemm8RowMajorENS3_11ColumnMajorES4_DF16bNS_7pk_i4_tEfDF16bDF16bNS_16tensor_operation12element_wise11PassThroughES9_S9_LNS7_6device18GemmSpecializationE0ELi128ELi16ELi64ELi128ELi8ELi32ELi16ELi16ELi1ELi1ENS_8SequenceIJLi16ELi8ELi1EEEENSC_IJLi1ELi0ELi2EEEESE_Li2ELi8ELi8ELb0ELi0ENSC_IJLi4ELi32ELi1EEEESE_SE_Li2ELi32ELi32ELb0ELi0ELi1ELi1ENSC_IJLi1ELi16ELi1ELi8EEEELi4ELNS_26BlockGemmPipelineSchedulerE1ELNS_24BlockGemmPipelineVersionE1EDF16bDF16bLb0ELb1ELb0ELi0ELb0EEELb1ELNS_25InMemoryDataOperationEnumE1ELi2ELNS_10TailNumberE3EEEvNT_8ArgumentE.uses_flat_scratch, 0
	.set _ZN2ck27kernel_gemm_xdl_cshuffle_v3INS_28GridwiseGemm_xdl_cshuffle_v3INS_13tensor_layout4gemm8RowMajorENS3_11ColumnMajorES4_DF16bNS_7pk_i4_tEfDF16bDF16bNS_16tensor_operation12element_wise11PassThroughES9_S9_LNS7_6device18GemmSpecializationE0ELi128ELi16ELi64ELi128ELi8ELi32ELi16ELi16ELi1ELi1ENS_8SequenceIJLi16ELi8ELi1EEEENSC_IJLi1ELi0ELi2EEEESE_Li2ELi8ELi8ELb0ELi0ENSC_IJLi4ELi32ELi1EEEESE_SE_Li2ELi32ELi32ELb0ELi0ELi1ELi1ENSC_IJLi1ELi16ELi1ELi8EEEELi4ELNS_26BlockGemmPipelineSchedulerE1ELNS_24BlockGemmPipelineVersionE1EDF16bDF16bLb0ELb1ELb0ELi0ELb0EEELb1ELNS_25InMemoryDataOperationEnumE1ELi2ELNS_10TailNumberE3EEEvNT_8ArgumentE.has_dyn_sized_stack, 0
	.set _ZN2ck27kernel_gemm_xdl_cshuffle_v3INS_28GridwiseGemm_xdl_cshuffle_v3INS_13tensor_layout4gemm8RowMajorENS3_11ColumnMajorES4_DF16bNS_7pk_i4_tEfDF16bDF16bNS_16tensor_operation12element_wise11PassThroughES9_S9_LNS7_6device18GemmSpecializationE0ELi128ELi16ELi64ELi128ELi8ELi32ELi16ELi16ELi1ELi1ENS_8SequenceIJLi16ELi8ELi1EEEENSC_IJLi1ELi0ELi2EEEESE_Li2ELi8ELi8ELb0ELi0ENSC_IJLi4ELi32ELi1EEEESE_SE_Li2ELi32ELi32ELb0ELi0ELi1ELi1ENSC_IJLi1ELi16ELi1ELi8EEEELi4ELNS_26BlockGemmPipelineSchedulerE1ELNS_24BlockGemmPipelineVersionE1EDF16bDF16bLb0ELb1ELb0ELi0ELb0EEELb1ELNS_25InMemoryDataOperationEnumE1ELi2ELNS_10TailNumberE3EEEvNT_8ArgumentE.has_recursion, 0
	.set _ZN2ck27kernel_gemm_xdl_cshuffle_v3INS_28GridwiseGemm_xdl_cshuffle_v3INS_13tensor_layout4gemm8RowMajorENS3_11ColumnMajorES4_DF16bNS_7pk_i4_tEfDF16bDF16bNS_16tensor_operation12element_wise11PassThroughES9_S9_LNS7_6device18GemmSpecializationE0ELi128ELi16ELi64ELi128ELi8ELi32ELi16ELi16ELi1ELi1ENS_8SequenceIJLi16ELi8ELi1EEEENSC_IJLi1ELi0ELi2EEEESE_Li2ELi8ELi8ELb0ELi0ENSC_IJLi4ELi32ELi1EEEESE_SE_Li2ELi32ELi32ELb0ELi0ELi1ELi1ENSC_IJLi1ELi16ELi1ELi8EEEELi4ELNS_26BlockGemmPipelineSchedulerE1ELNS_24BlockGemmPipelineVersionE1EDF16bDF16bLb0ELb1ELb0ELi0ELb0EEELb1ELNS_25InMemoryDataOperationEnumE1ELi2ELNS_10TailNumberE3EEEvNT_8ArgumentE.has_indirect_call, 0
	.section	.AMDGPU.csdata,"",@progbits
; Kernel info:
; codeLenInByte = 14776
; TotalNumSgprs: 31
; NumVgprs: 148
; ScratchSize: 0
; MemoryBound: 0
; FloatMode: 240
; IeeeMode: 1
; LDSByteSize: 8192 bytes/workgroup (compile time only)
; SGPRBlocks: 0
; VGPRBlocks: 18
; NumSGPRsForWavesPerEU: 31
; NumVGPRsForWavesPerEU: 148
; Occupancy: 9
; WaveLimiterHint : 0
; COMPUTE_PGM_RSRC2:SCRATCH_EN: 0
; COMPUTE_PGM_RSRC2:USER_SGPR: 2
; COMPUTE_PGM_RSRC2:TRAP_HANDLER: 0
; COMPUTE_PGM_RSRC2:TGID_X_EN: 1
; COMPUTE_PGM_RSRC2:TGID_Y_EN: 0
; COMPUTE_PGM_RSRC2:TGID_Z_EN: 1
; COMPUTE_PGM_RSRC2:TIDIG_COMP_CNT: 0
	.section	.text._ZN2ck27kernel_gemm_xdl_cshuffle_v3INS_28GridwiseGemm_xdl_cshuffle_v3INS_13tensor_layout4gemm8RowMajorENS3_11ColumnMajorES4_DF16bNS_7pk_i4_tEfDF16bDF16bNS_16tensor_operation12element_wise11PassThroughES9_S9_LNS7_6device18GemmSpecializationE0ELi128ELi16ELi64ELi128ELi8ELi32ELi16ELi16ELi1ELi1ENS_8SequenceIJLi16ELi8ELi1EEEENSC_IJLi1ELi0ELi2EEEESE_Li2ELi8ELi8ELb0ELi0ENSC_IJLi4ELi32ELi1EEEESE_SE_Li2ELi32ELi32ELb0ELi0ELi1ELi1ENSC_IJLi1ELi16ELi1ELi8EEEELi4ELNS_26BlockGemmPipelineSchedulerE1ELNS_24BlockGemmPipelineVersionE1EDF16bDF16bLb0ELb1ELb0ELi0ELb0EEELb1ELNS_25InMemoryDataOperationEnumE0ELi2ELNS_10TailNumberE2EEEvNT_8ArgumentE,"axG",@progbits,_ZN2ck27kernel_gemm_xdl_cshuffle_v3INS_28GridwiseGemm_xdl_cshuffle_v3INS_13tensor_layout4gemm8RowMajorENS3_11ColumnMajorES4_DF16bNS_7pk_i4_tEfDF16bDF16bNS_16tensor_operation12element_wise11PassThroughES9_S9_LNS7_6device18GemmSpecializationE0ELi128ELi16ELi64ELi128ELi8ELi32ELi16ELi16ELi1ELi1ENS_8SequenceIJLi16ELi8ELi1EEEENSC_IJLi1ELi0ELi2EEEESE_Li2ELi8ELi8ELb0ELi0ENSC_IJLi4ELi32ELi1EEEESE_SE_Li2ELi32ELi32ELb0ELi0ELi1ELi1ENSC_IJLi1ELi16ELi1ELi8EEEELi4ELNS_26BlockGemmPipelineSchedulerE1ELNS_24BlockGemmPipelineVersionE1EDF16bDF16bLb0ELb1ELb0ELi0ELb0EEELb1ELNS_25InMemoryDataOperationEnumE0ELi2ELNS_10TailNumberE2EEEvNT_8ArgumentE,comdat
	.protected	_ZN2ck27kernel_gemm_xdl_cshuffle_v3INS_28GridwiseGemm_xdl_cshuffle_v3INS_13tensor_layout4gemm8RowMajorENS3_11ColumnMajorES4_DF16bNS_7pk_i4_tEfDF16bDF16bNS_16tensor_operation12element_wise11PassThroughES9_S9_LNS7_6device18GemmSpecializationE0ELi128ELi16ELi64ELi128ELi8ELi32ELi16ELi16ELi1ELi1ENS_8SequenceIJLi16ELi8ELi1EEEENSC_IJLi1ELi0ELi2EEEESE_Li2ELi8ELi8ELb0ELi0ENSC_IJLi4ELi32ELi1EEEESE_SE_Li2ELi32ELi32ELb0ELi0ELi1ELi1ENSC_IJLi1ELi16ELi1ELi8EEEELi4ELNS_26BlockGemmPipelineSchedulerE1ELNS_24BlockGemmPipelineVersionE1EDF16bDF16bLb0ELb1ELb0ELi0ELb0EEELb1ELNS_25InMemoryDataOperationEnumE0ELi2ELNS_10TailNumberE2EEEvNT_8ArgumentE ; -- Begin function _ZN2ck27kernel_gemm_xdl_cshuffle_v3INS_28GridwiseGemm_xdl_cshuffle_v3INS_13tensor_layout4gemm8RowMajorENS3_11ColumnMajorES4_DF16bNS_7pk_i4_tEfDF16bDF16bNS_16tensor_operation12element_wise11PassThroughES9_S9_LNS7_6device18GemmSpecializationE0ELi128ELi16ELi64ELi128ELi8ELi32ELi16ELi16ELi1ELi1ENS_8SequenceIJLi16ELi8ELi1EEEENSC_IJLi1ELi0ELi2EEEESE_Li2ELi8ELi8ELb0ELi0ENSC_IJLi4ELi32ELi1EEEESE_SE_Li2ELi32ELi32ELb0ELi0ELi1ELi1ENSC_IJLi1ELi16ELi1ELi8EEEELi4ELNS_26BlockGemmPipelineSchedulerE1ELNS_24BlockGemmPipelineVersionE1EDF16bDF16bLb0ELb1ELb0ELi0ELb0EEELb1ELNS_25InMemoryDataOperationEnumE0ELi2ELNS_10TailNumberE2EEEvNT_8ArgumentE
	.globl	_ZN2ck27kernel_gemm_xdl_cshuffle_v3INS_28GridwiseGemm_xdl_cshuffle_v3INS_13tensor_layout4gemm8RowMajorENS3_11ColumnMajorES4_DF16bNS_7pk_i4_tEfDF16bDF16bNS_16tensor_operation12element_wise11PassThroughES9_S9_LNS7_6device18GemmSpecializationE0ELi128ELi16ELi64ELi128ELi8ELi32ELi16ELi16ELi1ELi1ENS_8SequenceIJLi16ELi8ELi1EEEENSC_IJLi1ELi0ELi2EEEESE_Li2ELi8ELi8ELb0ELi0ENSC_IJLi4ELi32ELi1EEEESE_SE_Li2ELi32ELi32ELb0ELi0ELi1ELi1ENSC_IJLi1ELi16ELi1ELi8EEEELi4ELNS_26BlockGemmPipelineSchedulerE1ELNS_24BlockGemmPipelineVersionE1EDF16bDF16bLb0ELb1ELb0ELi0ELb0EEELb1ELNS_25InMemoryDataOperationEnumE0ELi2ELNS_10TailNumberE2EEEvNT_8ArgumentE
	.p2align	8
	.type	_ZN2ck27kernel_gemm_xdl_cshuffle_v3INS_28GridwiseGemm_xdl_cshuffle_v3INS_13tensor_layout4gemm8RowMajorENS3_11ColumnMajorES4_DF16bNS_7pk_i4_tEfDF16bDF16bNS_16tensor_operation12element_wise11PassThroughES9_S9_LNS7_6device18GemmSpecializationE0ELi128ELi16ELi64ELi128ELi8ELi32ELi16ELi16ELi1ELi1ENS_8SequenceIJLi16ELi8ELi1EEEENSC_IJLi1ELi0ELi2EEEESE_Li2ELi8ELi8ELb0ELi0ENSC_IJLi4ELi32ELi1EEEESE_SE_Li2ELi32ELi32ELb0ELi0ELi1ELi1ENSC_IJLi1ELi16ELi1ELi8EEEELi4ELNS_26BlockGemmPipelineSchedulerE1ELNS_24BlockGemmPipelineVersionE1EDF16bDF16bLb0ELb1ELb0ELi0ELb0EEELb1ELNS_25InMemoryDataOperationEnumE0ELi2ELNS_10TailNumberE2EEEvNT_8ArgumentE,@function
_ZN2ck27kernel_gemm_xdl_cshuffle_v3INS_28GridwiseGemm_xdl_cshuffle_v3INS_13tensor_layout4gemm8RowMajorENS3_11ColumnMajorES4_DF16bNS_7pk_i4_tEfDF16bDF16bNS_16tensor_operation12element_wise11PassThroughES9_S9_LNS7_6device18GemmSpecializationE0ELi128ELi16ELi64ELi128ELi8ELi32ELi16ELi16ELi1ELi1ENS_8SequenceIJLi16ELi8ELi1EEEENSC_IJLi1ELi0ELi2EEEESE_Li2ELi8ELi8ELb0ELi0ENSC_IJLi4ELi32ELi1EEEESE_SE_Li2ELi32ELi32ELb0ELi0ELi1ELi1ENSC_IJLi1ELi16ELi1ELi8EEEELi4ELNS_26BlockGemmPipelineSchedulerE1ELNS_24BlockGemmPipelineVersionE1EDF16bDF16bLb0ELb1ELb0ELi0ELb0EEELb1ELNS_25InMemoryDataOperationEnumE0ELi2ELNS_10TailNumberE2EEEvNT_8ArgumentE: ; @_ZN2ck27kernel_gemm_xdl_cshuffle_v3INS_28GridwiseGemm_xdl_cshuffle_v3INS_13tensor_layout4gemm8RowMajorENS3_11ColumnMajorES4_DF16bNS_7pk_i4_tEfDF16bDF16bNS_16tensor_operation12element_wise11PassThroughES9_S9_LNS7_6device18GemmSpecializationE0ELi128ELi16ELi64ELi128ELi8ELi32ELi16ELi16ELi1ELi1ENS_8SequenceIJLi16ELi8ELi1EEEENSC_IJLi1ELi0ELi2EEEESE_Li2ELi8ELi8ELb0ELi0ENSC_IJLi4ELi32ELi1EEEESE_SE_Li2ELi32ELi32ELb0ELi0ELi1ELi1ENSC_IJLi1ELi16ELi1ELi8EEEELi4ELNS_26BlockGemmPipelineSchedulerE1ELNS_24BlockGemmPipelineVersionE1EDF16bDF16bLb0ELb1ELb0ELi0ELb0EEELb1ELNS_25InMemoryDataOperationEnumE0ELi2ELNS_10TailNumberE2EEEvNT_8ArgumentE
; %bb.0:
	s_clause 0x4
	s_load_b96 s[12:14], s[0:1], 0x20
	s_load_b96 s[16:18], s[0:1], 0x60
	s_load_b128 s[4:7], s[0:1], 0x10
	s_load_b32 s22, s[0:1], 0x3c
	s_load_b128 s[8:11], s[0:1], 0x50
	s_lshr_b32 s2, ttmp7, 16
	s_mov_b32 s23, ttmp9
	s_mov_b64 s[20:21], 0
	s_wait_kmcnt 0x0
	s_cmp_gt_i32 s14, 1
	s_cselect_b32 s3, -1, 0
	s_bitcmp1_b32 s18, 0
	s_cselect_b32 s15, -1, 0
	s_delay_alu instid0(SALU_CYCLE_1) | instskip(NEXT) | instid1(SALU_CYCLE_1)
	s_and_b32 s3, s3, s15
	s_and_not1_b32 vcc_lo, exec_lo, s3
	s_cbranch_vccnz .LBB8_2
; %bb.1:
	s_mul_i32 s3, s4, s2
	s_delay_alu instid0(SALU_CYCLE_1) | instskip(NEXT) | instid1(SALU_CYCLE_1)
	s_mul_i32 s20, s3, s5
	s_ashr_i32 s21, s20, 31
.LBB8_2:
	s_load_b32 s3, s[0:1], 0x34
	s_add_co_i32 s19, s4, -1
	s_mov_b32 s18, 0
	s_cmp_lt_u32 s19, 16
	s_cbranch_scc1 .LBB8_6
; %bb.3:
	s_add_co_i32 s0, s5, -1
	s_delay_alu instid0(SALU_CYCLE_1)
	s_cmp_lt_u32 s0, 64
	s_mov_b32 s0, 0
	s_cbranch_scc1 .LBB8_10
; %bb.4:
	s_add_co_i32 s0, s4, 15
	s_add_co_i32 s1, s5, 63
	s_ashr_i32 s15, s0, 31
	s_ashr_i32 s24, s1, 31
	s_lshr_b32 s15, s15, 28
	s_lshr_b32 s24, s24, 26
	s_add_co_i32 s0, s0, s15
	s_add_co_i32 s15, s1, s24
	s_ashr_i32 s1, s0, 4
	s_ashr_i32 s0, s15, 6
	;; [unrolled: 1-line block ×3, first 2 shown]
	s_mul_i32 s15, s0, s1
	s_delay_alu instid0(SALU_CYCLE_1) | instskip(NEXT) | instid1(SALU_CYCLE_1)
	s_add_co_i32 s24, s15, 7
	s_ashr_i32 s25, s24, 31
	s_delay_alu instid0(SALU_CYCLE_1) | instskip(NEXT) | instid1(SALU_CYCLE_1)
	s_lshr_b32 s25, s25, 29
	s_add_co_i32 s25, s24, s25
	s_lshr_b32 s24, s26, 29
	s_and_b32 s27, s25, -8
	s_add_co_i32 s26, s23, s24
	s_sub_co_i32 s24, s15, s27
	s_and_b32 s15, s26, -8
	s_add_co_i32 s24, s24, 8
	s_sub_co_i32 s23, s23, s15
	s_ashr_i32 s25, s25, 3
	s_cmp_gt_i32 s23, s24
	s_cbranch_scc1 .LBB8_7
; %bb.5:
	s_mul_i32 s15, s25, s23
	s_ashr_i32 s26, s26, 3
	s_cbranch_execz .LBB8_8
	s_branch .LBB8_9
.LBB8_6:
	s_mov_b32 s15, s18
	s_branch .LBB8_11
.LBB8_7:
                                        ; implicit-def: $sgpr15
	s_ashr_i32 s26, s26, 3
.LBB8_8:
	s_add_co_i32 s15, s25, -1
	s_delay_alu instid0(SALU_CYCLE_1) | instskip(NEXT) | instid1(SALU_CYCLE_1)
	s_mul_i32 s15, s15, s23
	s_add_co_i32 s15, s24, s15
.LBB8_9:
	s_abs_i32 s23, s0
	s_add_co_i32 s15, s15, s26
	s_cvt_f32_u32 s24, s23
	s_sub_co_i32 s25, 0, s23
	s_abs_i32 s26, s15
	s_delay_alu instid0(SALU_CYCLE_1) | instskip(NEXT) | instid1(TRANS32_DEP_1)
	v_rcp_iflag_f32_e32 v1, s24
	v_readfirstlane_b32 s24, v1
	s_mul_f32 s24, s24, 0x4f7ffffe
	s_wait_alu 0xfffe
	s_delay_alu instid0(SALU_CYCLE_2) | instskip(SKIP_1) | instid1(SALU_CYCLE_2)
	s_cvt_u32_f32 s24, s24
	s_wait_alu 0xfffe
	s_mul_i32 s25, s25, s24
	s_wait_alu 0xfffe
	s_mul_hi_u32 s25, s24, s25
	s_wait_alu 0xfffe
	s_add_co_i32 s24, s24, s25
	s_xor_b32 s25, s15, s0
	s_wait_alu 0xfffe
	s_mul_hi_u32 s24, s26, s24
	s_ashr_i32 s25, s25, 31
	s_wait_alu 0xfffe
	s_mul_i32 s27, s24, s23
	s_delay_alu instid0(SALU_CYCLE_1)
	s_sub_co_i32 s26, s26, s27
	s_add_co_i32 s27, s24, 1
	s_sub_co_i32 s28, s26, s23
	s_cmp_ge_u32 s26, s23
	s_cselect_b32 s24, s27, s24
	s_cselect_b32 s26, s28, s26
	s_wait_alu 0xfffe
	s_add_co_i32 s27, s24, 1
	s_cmp_ge_u32 s26, s23
	s_cselect_b32 s23, s27, s24
	s_lshr_b32 s24, s1, 30
	s_xor_b32 s23, s23, s25
	s_wait_alu 0xfffe
	s_add_co_i32 s24, s1, s24
	s_sub_co_i32 s23, s23, s25
	s_wait_alu 0xfffe
	s_and_b32 s24, s24, -4
	s_mul_i32 s25, s23, s0
	s_wait_alu 0xfffe
	s_sub_co_i32 s1, s1, s24
	s_sub_co_i32 s15, s15, s25
	s_cmp_ge_i32 s23, s24
	s_cselect_b32 s1, s1, 4
	s_ashr_i32 s26, s23, 31
	s_abs_i32 s24, s1
	s_lshr_b32 s26, s26, 30
	s_wait_alu 0xfffe
	s_cvt_f32_u32 s25, s24
	s_add_co_i32 s26, s23, s26
	s_sub_co_i32 s27, 0, s24
	s_and_b32 s26, s26, -4
	s_wait_alu 0xfffe
	v_rcp_iflag_f32_e32 v1, s25
	s_sub_co_i32 s26, s23, s26
	s_delay_alu instid0(SALU_CYCLE_1) | instskip(NEXT) | instid1(SALU_CYCLE_1)
	s_mul_i32 s0, s26, s0
	s_add_co_i32 s15, s0, s15
	s_delay_alu instid0(TRANS32_DEP_1) | instskip(SKIP_2) | instid1(SALU_CYCLE_2)
	v_readfirstlane_b32 s25, v1
	s_mul_f32 s25, s25, 0x4f7ffffe
	s_wait_alu 0xfffe
	s_cvt_u32_f32 s25, s25
	s_wait_alu 0xfffe
	s_delay_alu instid0(SALU_CYCLE_2) | instskip(NEXT) | instid1(SALU_CYCLE_1)
	s_mul_i32 s27, s27, s25
	s_mul_hi_u32 s0, s25, s27
	s_abs_i32 s27, s15
	s_add_co_i32 s25, s25, s0
	s_wait_alu 0xfffe
	s_mul_hi_u32 s0, s27, s25
	s_xor_b32 s25, s15, s1
	s_mul_i32 s28, s0, s24
	s_wait_alu 0xfffe
	s_ashr_i32 s25, s25, 31
	s_sub_co_i32 s27, s27, s28
	s_add_co_i32 s28, s0, 1
	s_sub_co_i32 s29, s27, s24
	s_cmp_ge_u32 s27, s24
	s_cselect_b32 s0, s28, s0
	s_cselect_b32 s27, s29, s27
	s_add_co_i32 s28, s0, 1
	s_cmp_ge_u32 s27, s24
	s_cselect_b32 s0, s28, s0
	s_wait_alu 0xfffe
	s_xor_b32 s0, s0, s25
	s_delay_alu instid0(SALU_CYCLE_1) | instskip(NEXT) | instid1(SALU_CYCLE_1)
	s_sub_co_i32 s0, s0, s25
	s_mul_i32 s1, s0, s1
	s_delay_alu instid0(SALU_CYCLE_1) | instskip(NEXT) | instid1(SALU_CYCLE_1)
	s_sub_co_i32 s1, s15, s1
	s_add_co_i32 s1, s1, s23
	s_delay_alu instid0(SALU_CYCLE_1)
	s_sub_co_i32 s23, s1, s26
.LBB8_10:
	s_delay_alu instid0(SALU_CYCLE_1)
	s_mov_b32 s15, s23
	s_mov_b32 s23, s0
.LBB8_11:
	v_lshrrev_b32_e32 v103, 3, v0
	s_wait_kmcnt 0x0
	s_mul_i32 s0, s3, s2
	s_ashr_i32 s25, s12, 31
	s_ashr_i32 s1, s0, 31
	s_mul_i32 s24, s0, s5
	v_dual_mov_b32 v58, 3 :: v_dual_and_b32 v37, 14, v103
	s_lshl_b64 s[0:1], s[0:1], 1
	s_wait_alu 0xfffe
	s_lshr_b32 s25, s25, 25
	s_add_nc_u64 s[0:1], s[8:9], s[0:1]
	v_lshl_or_b32 v1, s15, 4, v37
	s_wait_alu 0xfffe
	s_add_co_i32 s8, s12, s25
	s_lshr_b32 s24, s24, 1
	s_ashr_i32 s26, s8, 7
	s_add_co_i32 s8, s14, -1
	v_mul_lo_u32 v38, v1, s7
	s_mul_i32 s9, s8, s3
	s_lshl_b32 s12, s5, 7
	s_sub_co_i32 s6, s6, s9
	v_lshrrev_b32_e32 v104, 1, v0
	v_and_b32_e32 v2, 3, v0
	v_and_b32_e32 v105, 15, v0
	s_cmp_lt_u32 s2, s8
	s_mov_b32 s2, s7
	s_wait_alu 0xfffe
	s_cselect_b32 s8, s3, s6
	s_lshl_b32 s6, s23, 6
	v_lshlrev_b32_e32 v3, 5, v2
	s_wait_alu 0xfffe
	v_and_or_b32 v1, v104, 62, s6
	v_lshl_add_u32 v4, v105, 3, v38
	s_mov_b32 s3, s18
	s_and_b32 s1, s1, 0xffff
	s_mul_u64 s[2:3], s[18:19], s[2:3]
	v_lshl_or_b32 v1, v1, 7, v3
	v_lshlrev_b32_e32 v3, 1, v4
	s_add_co_i32 s8, s8, s3
	v_add_lshl_u32 v9, v4, s7, 1
	s_lshl_b32 s2, s8, 1
	s_mov_b32 s3, 0x31004000
	s_mov_b32 s25, s18
	s_clause 0x1
	buffer_load_b128 v[5:8], v3, s[0:3], null offen
	buffer_load_b128 v[25:28], v9, s[0:3], null offen
	v_ashrrev_i32_e32 v3, 1, v1
	v_add_nc_u32_e32 v9, 0x80, v4
	v_add_nc_u32_e32 v1, s12, v1
	s_add_nc_u64 s[8:9], s[10:11], s[24:25]
	s_mul_i32 s10, s5, s26
	s_and_b32 s9, s9, 0xffff
	s_lshl_b32 s10, s10, 6
	s_mov_b32 s11, s3
	s_clause 0x1
	buffer_load_b128 v[29:32], v3, s[8:11], null offen
	buffer_load_b128 v[33:36], v3, s[8:11], null offen offset:64
	v_lshlrev_b32_e32 v3, 1, v9
	v_add_nc_u32_e32 v39, s12, v1
	v_add_lshl_u32 v9, v9, s7, 1
	v_add_nc_u32_e32 v10, 0x80, v1
	v_add_nc_u32_e32 v4, 0x100, v4
	s_clause 0x1
	buffer_load_b128 v[53:56], v3, s[0:3], null offen
	buffer_load_b128 v[49:52], v9, s[0:3], null offen
	v_ashrrev_i32_e32 v1, 1, v1
	v_add_nc_u32_e32 v3, 0x80, v39
	v_ashrrev_i32_e32 v9, 1, v10
	v_lshlrev_b32_e32 v10, 1, v4
	v_add_lshl_u32 v4, v4, s7, 1
	v_ashrrev_i32_e32 v11, 1, v39
	v_ashrrev_i32_e32 v3, 1, v3
	s_clause 0x1
	buffer_load_b128 v[41:44], v1, s[8:11], null offen
	buffer_load_b128 v[45:48], v9, s[8:11], null offen
	s_clause 0x1
	buffer_load_b128 v[21:24], v10, s[0:3], null offen
	buffer_load_b128 v[17:20], v4, s[0:3], null offen
	;; [unrolled: 3-line block ×3, first 2 shown]
	v_lshlrev_b32_e32 v4, 2, v0
	v_bfe_u32 v40, v0, 2, 3
	v_mov_b32_e32 v1, 0
	v_lshlrev_b32_e32 v57, 1, v2
	v_lshrrev_b32_e32 v3, 2, v0
	v_and_b32_e32 v60, 64, v4
	v_or_b32_e32 v107, 12, v2
	v_or_b32_e32 v108, 1, v103
	v_xor_b32_e32 v64, v57, v40
	v_or_b32_e32 v57, 1, v57
	v_lshrrev_b32_e32 v65, 3, v60
	v_lshrrev_b32_e32 v66, 5, v60
	;; [unrolled: 1-line block ×3, first 2 shown]
	v_or_b32_e32 v60, 32, v60
	v_mov_b32_e32 v2, v1
	v_and_or_b32 v62, v104, 48, v105
	v_xor_b32_e32 v40, v57, v40
	v_and_or_b32 v68, v0, 1, v68
	v_lshrrev_b32_e32 v72, 3, v60
	v_lshrrev_b32_e32 v60, 5, v60
	v_lshlrev_b32_e32 v59, 8, v3
	v_xor_b32_e32 v113, v37, v105
	v_lshlrev_b32_e32 v63, 7, v37
	v_lshrrev_b32_e32 v67, 1, v62
	v_sub_nc_u32_e32 v60, v60, v66
	v_bfe_u32 v62, v62, 1, 3
	v_or_b32_e32 v69, 1, v37
	v_sub_nc_u32_e32 v37, v108, v37
	v_sub_nc_u32_e32 v66, v40, v64
	;; [unrolled: 1-line block ×3, first 2 shown]
	v_lshl_add_u32 v60, v60, 1, v68
	v_lshl_or_b32 v111, v64, 5, v59
	v_xor_b32_e32 v59, v65, v105
	v_lshlrev_b32_e32 v67, 8, v67
	v_xor_b32_e32 v69, v69, v105
	v_or_b32_e32 v57, 1, v65
	v_or_b32_e32 v70, 2, v65
	;; [unrolled: 1-line block ×6, first 2 shown]
	v_lshlrev_b32_e32 v112, 7, v37
	v_add_nc_u32_e32 v114, -1, v37
	v_xor_b32_e32 v37, v62, v68
	v_lshlrev_b32_e32 v125, 5, v40
	v_xor_b32_e32 v40, v60, v62
	v_lshlrev_b32_e32 v61, 8, v105
	v_lshl_or_b32 v63, v113, 3, v63
	v_sub_nc_u32_e32 v75, v69, v113
	v_sub_nc_u32_e32 v69, v113, v69
	v_xor_b32_e32 v57, v57, v105
	v_xor_b32_e32 v70, v70, v105
	;; [unrolled: 1-line block ×7, first 2 shown]
	v_add_nc_u32_e32 v64, s7, v38
	v_lshlrev_b32_e32 v122, 1, v38
	v_lshl_or_b32 v38, v37, 5, v67
	v_lshlrev_b32_e32 v123, 5, v66
	v_sub_nc_u32_e32 v37, v40, v37
	v_lshl_or_b32 v110, v59, 4, v61
	v_lshlrev_b32_e32 v61, 1, v63
	s_ashr_i32 s14, s22, 31
	v_lshlrev_b32_e32 v67, 3, v75
	v_lshlrev_b32_e32 v68, 3, v69
	v_sub_nc_u32_e32 v57, v57, v59
	v_sub_nc_u32_e32 v66, v70, v59
	;; [unrolled: 1-line block ×7, first 2 shown]
	v_add_nc_u32_e32 v60, v123, v111
	v_lshl_add_u32 v37, v37, 5, v38
	v_lshl_add_u32 v69, v75, 4, v61
	s_wait_alu 0xfffe
	s_lshr_b32 s14, s14, 28
	v_lshrrev_b32_e32 v76, 1, v111
	s_wait_alu 0xfffe
	s_add_co_i32 s22, s22, s14
	v_lshlrev_b32_e32 v109, 4, v105
	v_dual_mov_b32 v3, v1 :: v_dual_mov_b32 v4, v1
	v_lshl_add_u32 v126, v64, 1, 0x500
	v_add3_u32 v59, v67, v63, v68
	v_lshl_add_u32 v115, v57, 4, v110
	v_lshl_add_u32 v116, v66, 4, v110
	;; [unrolled: 1-line block ×7, first 2 shown]
	v_lshrrev_b32_e32 v124, 1, v38
	v_add_nc_u32_e32 v57, s12, v39
	v_ashrrev_i32_e32 v38, 1, v60
	v_ashrrev_i32_e32 v106, 1, v37
	s_ashr_i32 s14, s22, 4
	s_mov_b32 s7, s18
	s_wait_alu 0xfffe
	s_add_co_i32 s14, s14, -3
	s_wait_loadcnt 0xb
	ds_store_b128 v61, v[5:8]
	s_wait_loadcnt 0xa
	ds_store_b128 v69, v[25:28] offset:256
	s_wait_loadcnt 0x9
	ds_store_b128 v76, v[29:32] offset:4096
	v_dual_mov_b32 v5, v1 :: v_dual_mov_b32 v6, v1
	v_dual_mov_b32 v7, v1 :: v_dual_mov_b32 v8, v1
	s_wait_loadcnt 0x8
	ds_store_b128 v38, v[33:36] offset:4096
.LBB8_12:                               ; =>This Inner Loop Header: Depth=1
	s_wait_dscnt 0x0
	s_barrier_signal -1
	s_barrier_wait -1
	ds_load_b128 v[33:36], v124 offset:4096
	ds_load_b128 v[37:40], v110
	ds_load_b128 v[60:63], v115
	;; [unrolled: 1-line block ×8, first 2 shown]
	ds_load_b128 v[80:83], v106 offset:4096
	s_wait_dscnt 0x9
	v_and_or_b32 v84, v33, 15, 0x4b000000
	v_lshrrev_b32_e32 v85, 4, v33
	v_lshrrev_b32_e32 v86, 8, v33
	;; [unrolled: 1-line block ×3, first 2 shown]
	v_ashrrev_i32_e32 v33, 16, v33
	v_lshrrev_b32_e32 v88, 4, v34
	v_and_or_b32 v85, v85, 15, 0x4b000000
	v_and_or_b32 v86, v86, 15, 0x4b000000
	;; [unrolled: 1-line block ×3, first 2 shown]
	v_lshrrev_b32_e32 v91, 4, v33
	s_delay_alu instid0(VALU_DEP_4) | instskip(NEXT) | instid1(VALU_DEP_3)
	v_dual_add_f32 v84, 0xcb000008, v84 :: v_dual_add_f32 v85, 0xcb000008, v85
	v_dual_add_f32 v86, 0xcb000008, v86 :: v_dual_add_f32 v87, 0xcb000008, v87
	s_delay_alu instid0(VALU_DEP_3) | instskip(SKIP_1) | instid1(VALU_DEP_4)
	v_and_or_b32 v91, v91, 15, 0x4b000000
	v_and_or_b32 v92, v33, 15, 0x4b000000
	v_lshrrev_b32_e32 v85, 16, v85
	v_lshrrev_b32_e32 v89, 8, v34
	;; [unrolled: 1-line block ×3, first 2 shown]
	s_delay_alu instid0(VALU_DEP_4) | instskip(SKIP_2) | instid1(VALU_DEP_4)
	v_dual_add_f32 v91, 0xcb000008, v91 :: v_dual_add_f32 v92, 0xcb000008, v92
	v_lshrrev_b32_e32 v90, 12, v34
	v_and_or_b32 v84, 0xffff0000, v84, v85
	v_and_or_b32 v85, 0xffff0000, v86, v87
	s_delay_alu instid0(VALU_DEP_4)
	v_lshrrev_b32_e32 v91, 16, v91
	v_and_or_b32 v87, v34, 15, 0x4b000000
	v_ashrrev_i32_e32 v34, 16, v34
	v_and_or_b32 v88, v88, 15, 0x4b000000
	v_lshrrev_b32_e32 v93, 8, v33
	v_and_or_b32 v86, 0xffff0000, v92, v91
	v_lshrrev_b32_e32 v33, 12, v33
	v_lshrrev_b32_e32 v92, 12, v34
	v_and_or_b32 v90, v90, 15, 0x4b000000
	v_and_or_b32 v93, v93, 15, 0x4b000000
	v_lshrrev_b32_e32 v94, 8, v34
	v_and_or_b32 v33, v33, 15, 0x4b000000
	v_and_or_b32 v92, v92, 15, 0x4b000000
	v_add_f32_e32 v91, 0xcb000008, v87
	v_add_f32_e32 v87, 0xcb000008, v88
	v_lshrrev_b32_e32 v88, 4, v34
	v_and_or_b32 v34, v34, 15, 0x4b000000
	v_dual_add_f32 v33, 0xcb000008, v33 :: v_dual_add_f32 v90, 0xcb000008, v90
	v_and_or_b32 v89, v89, 15, 0x4b000000
	s_delay_alu instid0(VALU_DEP_4)
	v_and_or_b32 v88, v88, 15, 0x4b000000
	v_dual_add_f32 v93, 0xcb000008, v93 :: v_dual_add_f32 v92, 0xcb000008, v92
	v_add_f32_e32 v34, 0xcb000008, v34
	v_lshrrev_b32_e32 v95, 16, v87
	v_and_or_b32 v87, v94, 15, 0x4b000000
	v_add_f32_e32 v88, 0xcb000008, v88
	v_lshrrev_b32_e32 v33, 16, v33
	v_add_f32_e32 v89, 0xcb000008, v89
	v_lshrrev_b32_e32 v90, 16, v90
	;; [unrolled: 2-line block ×3, first 2 shown]
	v_lshrrev_b32_e32 v92, 16, v92
	v_and_or_b32 v87, 0xffff0000, v93, v33
	v_and_or_b32 v88, 0xffff0000, v91, v95
	;; [unrolled: 1-line block ×5, first 2 shown]
	v_lshrrev_b32_e32 v33, 4, v35
	v_lshrrev_b32_e32 v34, 8, v35
	;; [unrolled: 1-line block ×3, first 2 shown]
	v_and_or_b32 v93, v35, 15, 0x4b000000
	v_ashrrev_i32_e32 v35, 16, v35
	v_and_or_b32 v33, v33, 15, 0x4b000000
	v_and_or_b32 v34, v34, 15, 0x4b000000
	v_and_or_b32 v92, v92, 15, 0x4b000000
	v_add_f32_e32 v93, 0xcb000008, v93
	v_lshrrev_b32_e32 v94, 4, v35
	v_lshrrev_b32_e32 v95, 12, v35
	;; [unrolled: 1-line block ×3, first 2 shown]
	v_and_or_b32 v35, v35, 15, 0x4b000000
	v_dual_add_f32 v33, 0xcb000008, v33 :: v_dual_add_f32 v92, 0xcb000008, v92
	v_and_or_b32 v94, v94, 15, 0x4b000000
	v_and_or_b32 v95, v95, 15, 0x4b000000
	;; [unrolled: 1-line block ×3, first 2 shown]
	v_dual_add_f32 v35, 0xcb000008, v35 :: v_dual_add_f32 v34, 0xcb000008, v34
	s_delay_alu instid0(VALU_DEP_3) | instskip(NEXT) | instid1(VALU_DEP_3)
	v_dual_add_f32 v94, 0xcb000008, v94 :: v_dual_add_f32 v95, 0xcb000008, v95
	v_add_f32_e32 v96, 0xcb000008, v96
	v_lshrrev_b32_e32 v33, 16, v33
	v_lshrrev_b32_e32 v97, 16, v92
	s_delay_alu instid0(VALU_DEP_4)
	v_lshrrev_b32_e32 v94, 16, v94
	v_lshrrev_b32_e32 v95, 16, v95
	s_wait_dscnt 0x0
	v_and_or_b32 v100, v80, 15, 0x4b000000
	v_and_or_b32 v92, 0xffff0000, v93, v33
	;; [unrolled: 1-line block ×5, first 2 shown]
	v_ashrrev_i32_e32 v96, 16, v36
	v_lshrrev_b32_e32 v34, 8, v36
	v_lshrrev_b32_e32 v35, 12, v36
	;; [unrolled: 1-line block ×3, first 2 shown]
	v_and_or_b32 v36, v36, 15, 0x4b000000
	v_lshrrev_b32_e32 v97, 4, v96
	v_and_or_b32 v34, v34, 15, 0x4b000000
	v_and_or_b32 v35, v35, 15, 0x4b000000
	;; [unrolled: 1-line block ×3, first 2 shown]
	v_lshrrev_b32_e32 v98, 12, v96
	v_and_or_b32 v97, v97, 15, 0x4b000000
	s_delay_alu instid0(VALU_DEP_4) | instskip(SKIP_2) | instid1(VALU_DEP_4)
	v_dual_add_f32 v34, 0xcb000008, v34 :: v_dual_add_f32 v35, 0xcb000008, v35
	v_lshrrev_b32_e32 v99, 8, v96
	v_and_or_b32 v96, v96, 15, 0x4b000000
	v_add_f32_e32 v97, 0xcb000008, v97
	v_dual_add_f32 v33, 0xcb000008, v33 :: v_dual_add_f32 v36, 0xcb000008, v36
	v_lshrrev_b32_e32 v35, 16, v35
	s_delay_alu instid0(VALU_DEP_4) | instskip(NEXT) | instid1(VALU_DEP_4)
	v_add_f32_e32 v96, 0xcb000008, v96
	v_lshrrev_b32_e32 v97, 16, v97
	s_delay_alu instid0(VALU_DEP_4)
	v_lshrrev_b32_e32 v33, 16, v33
	v_and_or_b32 v98, v98, 15, 0x4b000000
	v_and_or_b32 v99, v99, 15, 0x4b000000
	;; [unrolled: 1-line block ×4, first 2 shown]
	v_lshrrev_b32_e32 v97, 8, v80
	v_and_or_b32 v33, 0xffff0000, v36, v33
	v_lshrrev_b32_e32 v96, 4, v80
	v_and_or_b32 v133, v83, 15, 0x4b000000
	s_delay_alu instid0(VALU_DEP_4)
	v_and_or_b32 v97, v97, 15, 0x4b000000
	v_add_f32_e32 v36, 0xcb000008, v98
	v_add_f32_e32 v98, 0xcb000008, v99
	v_lshrrev_b32_e32 v99, 12, v80
	v_ashrrev_i32_e32 v80, 16, v80
	v_add_f32_e32 v97, 0xcb000008, v97
	v_lshrrev_b32_e32 v36, 16, v36
	v_and_or_b32 v96, v96, 15, 0x4b000000
	v_and_or_b32 v99, v99, 15, 0x4b000000
	v_lshrrev_b32_e32 v101, 4, v80
	v_lshrrev_b32_e32 v102, 12, v80
	;; [unrolled: 1-line block ×3, first 2 shown]
	v_and_or_b32 v80, v80, 15, 0x4b000000
	v_dual_add_f32 v100, 0xcb000008, v100 :: v_dual_add_f32 v99, 0xcb000008, v99
	v_and_or_b32 v101, v101, 15, 0x4b000000
	v_and_or_b32 v102, v102, 15, 0x4b000000
	s_delay_alu instid0(VALU_DEP_4) | instskip(SKIP_1) | instid1(VALU_DEP_4)
	v_add_f32_e32 v80, 0xcb000008, v80
	v_and_or_b32 v127, v127, 15, 0x4b000000
	v_dual_add_f32 v96, 0xcb000008, v96 :: v_dual_add_f32 v101, 0xcb000008, v101
	v_and_or_b32 v36, 0xffff0000, v98, v36
	v_lshrrev_b32_e32 v99, 16, v99
	s_delay_alu instid0(VALU_DEP_4) | instskip(NEXT) | instid1(VALU_DEP_4)
	v_add_f32_e32 v127, 0xcb000008, v127
	v_lshrrev_b32_e32 v96, 16, v96
	v_lshrrev_b32_e32 v101, 16, v101
	v_add_f32_e32 v133, 0xcb000008, v133
	v_and_or_b32 v97, 0xffff0000, v97, v99
	s_delay_alu instid0(VALU_DEP_4) | instskip(NEXT) | instid1(VALU_DEP_4)
	v_and_or_b32 v96, 0xffff0000, v100, v96
	v_and_or_b32 v98, 0xffff0000, v80, v101
	v_lshrrev_b32_e32 v101, 12, v81
	v_lshrrev_b32_e32 v80, 4, v81
	;; [unrolled: 1-line block ×3, first 2 shown]
	s_delay_alu instid0(VALU_DEP_3) | instskip(SKIP_1) | instid1(VALU_DEP_4)
	v_and_or_b32 v101, v101, 15, 0x4b000000
	v_add_f32_e32 v102, 0xcb000008, v102
	v_and_or_b32 v80, v80, 15, 0x4b000000
	s_delay_alu instid0(VALU_DEP_4) | instskip(NEXT) | instid1(VALU_DEP_4)
	v_and_or_b32 v100, v100, 15, 0x4b000000
	v_add_f32_e32 v101, 0xcb000008, v101
	s_delay_alu instid0(VALU_DEP_4) | instskip(NEXT) | instid1(VALU_DEP_2)
	v_lshrrev_b32_e32 v102, 16, v102
	v_lshrrev_b32_e32 v101, 16, v101
	s_delay_alu instid0(VALU_DEP_2) | instskip(SKIP_2) | instid1(VALU_DEP_1)
	v_and_or_b32 v99, 0xffff0000, v127, v102
	v_and_or_b32 v102, v81, 15, 0x4b000000
	v_ashrrev_i32_e32 v81, 16, v81
	v_lshrrev_b32_e32 v127, 4, v81
	v_lshrrev_b32_e32 v128, 12, v81
	;; [unrolled: 1-line block ×3, first 2 shown]
	v_and_or_b32 v81, v81, 15, 0x4b000000
	v_add_f32_e32 v102, 0xcb000008, v102
	v_and_or_b32 v127, v127, 15, 0x4b000000
	v_and_or_b32 v128, v128, 15, 0x4b000000
	;; [unrolled: 1-line block ×3, first 2 shown]
	v_dual_add_f32 v81, 0xcb000008, v81 :: v_dual_add_f32 v80, 0xcb000008, v80
	s_delay_alu instid0(VALU_DEP_3) | instskip(NEXT) | instid1(VALU_DEP_3)
	v_dual_add_f32 v127, 0xcb000008, v127 :: v_dual_add_f32 v128, 0xcb000008, v128
	v_add_f32_e32 v131, 0xcb000008, v129
	s_delay_alu instid0(VALU_DEP_3) | instskip(NEXT) | instid1(VALU_DEP_3)
	v_lshrrev_b32_e32 v80, 16, v80
	v_lshrrev_b32_e32 v130, 16, v127
	s_delay_alu instid0(VALU_DEP_4) | instskip(NEXT) | instid1(VALU_DEP_3)
	v_lshrrev_b32_e32 v132, 16, v128
	v_and_or_b32 v127, 0xffff0000, v102, v80
	s_delay_alu instid0(VALU_DEP_3) | instskip(SKIP_3) | instid1(VALU_DEP_3)
	v_and_or_b32 v129, 0xffff0000, v81, v130
	v_lshrrev_b32_e32 v81, 8, v82
	v_lshrrev_b32_e32 v80, 4, v82
	v_and_or_b32 v130, 0xffff0000, v131, v132
	v_and_or_b32 v81, v81, 15, 0x4b000000
	v_add_f32_e32 v100, 0xcb000008, v100
	s_delay_alu instid0(VALU_DEP_4) | instskip(NEXT) | instid1(VALU_DEP_3)
	v_and_or_b32 v80, v80, 15, 0x4b000000
	v_add_f32_e32 v81, 0xcb000008, v81
	s_delay_alu instid0(VALU_DEP_3) | instskip(SKIP_3) | instid1(VALU_DEP_3)
	v_and_or_b32 v128, 0xffff0000, v100, v101
	v_ashrrev_i32_e32 v101, 16, v82
	v_lshrrev_b32_e32 v100, 12, v82
	v_and_or_b32 v82, v82, 15, 0x4b000000
	v_lshrrev_b32_e32 v102, 4, v101
	v_lshrrev_b32_e32 v131, 12, v101
	;; [unrolled: 1-line block ×3, first 2 shown]
	v_and_or_b32 v101, v101, 15, 0x4b000000
	v_add_f32_e32 v82, 0xcb000008, v82
	v_and_or_b32 v102, v102, 15, 0x4b000000
	v_and_or_b32 v131, v131, 15, 0x4b000000
	s_delay_alu instid0(VALU_DEP_4) | instskip(SKIP_1) | instid1(VALU_DEP_3)
	v_dual_add_f32 v80, 0xcb000008, v80 :: v_dual_add_f32 v101, 0xcb000008, v101
	v_and_or_b32 v100, v100, 15, 0x4b000000
	v_dual_add_f32 v102, 0xcb000008, v102 :: v_dual_add_f32 v131, 0xcb000008, v131
	s_delay_alu instid0(VALU_DEP_3) | instskip(SKIP_1) | instid1(VALU_DEP_3)
	v_lshrrev_b32_e32 v80, 16, v80
	v_and_or_b32 v132, v132, 15, 0x4b000000
	v_lshrrev_b32_e32 v102, 16, v102
	s_delay_alu instid0(VALU_DEP_3) | instskip(NEXT) | instid1(VALU_DEP_2)
	v_and_or_b32 v80, 0xffff0000, v82, v80
	v_and_or_b32 v82, 0xffff0000, v101, v102
	v_lshrrev_b32_e32 v101, 4, v83
	v_lshrrev_b32_e32 v102, 16, v131
	;; [unrolled: 1-line block ×3, first 2 shown]
	s_delay_alu instid0(VALU_DEP_3) | instskip(SKIP_1) | instid1(VALU_DEP_3)
	v_and_or_b32 v101, v101, 15, 0x4b000000
	v_add_f32_e32 v100, 0xcb000008, v100
	v_and_or_b32 v131, v131, 15, 0x4b000000
	s_delay_alu instid0(VALU_DEP_3) | instskip(NEXT) | instid1(VALU_DEP_3)
	v_add_f32_e32 v101, 0xcb000008, v101
	v_lshrrev_b32_e32 v100, 16, v100
	s_delay_alu instid0(VALU_DEP_3) | instskip(NEXT) | instid1(VALU_DEP_3)
	v_add_f32_e32 v136, 0xcb000008, v131
	v_lshrrev_b32_e32 v101, 16, v101
	s_delay_alu instid0(VALU_DEP_3) | instskip(SKIP_3) | instid1(VALU_DEP_2)
	v_and_or_b32 v81, 0xffff0000, v81, v100
	v_add_f32_e32 v100, 0xcb000008, v132
	v_lshrrev_b32_e32 v132, 12, v83
	v_ashrrev_i32_e32 v83, 16, v83
	v_and_or_b32 v132, v132, 15, 0x4b000000
	s_delay_alu instid0(VALU_DEP_2) | instskip(SKIP_1) | instid1(VALU_DEP_3)
	v_lshrrev_b32_e32 v134, 4, v83
	v_lshrrev_b32_e32 v135, 12, v83
	v_add_f32_e32 v131, 0xcb000008, v132
	v_lshrrev_b32_e32 v132, 8, v83
	s_delay_alu instid0(VALU_DEP_4) | instskip(NEXT) | instid1(VALU_DEP_4)
	v_and_or_b32 v134, v134, 15, 0x4b000000
	v_and_or_b32 v135, v135, 15, 0x4b000000
	;; [unrolled: 1-line block ×3, first 2 shown]
	v_lshrrev_b32_e32 v137, 16, v131
	v_and_or_b32 v132, v132, 15, 0x4b000000
	s_delay_alu instid0(VALU_DEP_4) | instskip(NEXT) | instid1(VALU_DEP_4)
	v_dual_add_f32 v134, 0xcb000008, v134 :: v_dual_add_f32 v135, 0xcb000008, v135
	v_add_f32_e32 v138, 0xcb000008, v83
	v_and_or_b32 v83, 0xffff0000, v100, v102
	s_delay_alu instid0(VALU_DEP_4) | instskip(NEXT) | instid1(VALU_DEP_4)
	v_add_f32_e32 v139, 0xcb000008, v132
	v_lshrrev_b32_e32 v134, 16, v134
	v_lshrrev_b32_e32 v135, 16, v135
	v_and_or_b32 v131, 0xffff0000, v133, v101
	v_and_or_b32 v132, 0xffff0000, v136, v137
	s_delay_alu instid0(VALU_DEP_4) | instskip(NEXT) | instid1(VALU_DEP_4)
	v_and_or_b32 v133, 0xffff0000, v138, v134
	v_and_or_b32 v134, 0xffff0000, v139, v135
	; sched_barrier mask(0x00000000)
	s_barrier_signal -1
	s_barrier_wait -1
	; sched_barrier mask(0x00000000)
	v_wmma_f32_16x16x16_bf16 v[1:8], v[84:87], v[37:40], v[1:8]
	s_delay_alu instid0(VALU_DEP_1) | instskip(NEXT) | instid1(VALU_DEP_1)
	v_wmma_f32_16x16x16_bf16 v[1:8], v[88:91], v[60:63], v[1:8]
	v_wmma_f32_16x16x16_bf16 v[1:8], v[92:95], v[64:67], v[1:8]
	s_delay_alu instid0(VALU_DEP_1)
	v_wmma_f32_16x16x16_bf16 v[1:8], v[33:36], v[68:71], v[1:8]
	; sched_barrier mask(0x00000000)
	s_setprio 1
	; sched_barrier mask(0x00000000)
	; sched_barrier mask(0x00000000)
	s_wait_dscnt 0x0
	s_barrier_signal -1
	s_barrier_wait -1
	; sched_barrier mask(0x00000000)
	v_wmma_f32_16x16x16_bf16 v[1:8], v[96:99], v[72:75], v[1:8]
	s_delay_alu instid0(VALU_DEP_1) | instskip(NEXT) | instid1(VALU_DEP_1)
	v_wmma_f32_16x16x16_bf16 v[1:8], v[127:130], v[76:79], v[1:8]
	v_wmma_f32_16x16x16_bf16 v[1:8], v[80:83], v[29:32], v[1:8]
	s_delay_alu instid0(VALU_DEP_1)
	v_wmma_f32_16x16x16_bf16 v[1:8], v[131:134], v[25:28], v[1:8]
	; sched_barrier mask(0x00000000)
	s_setprio 0
	; sched_barrier mask(0x00000000)
	v_lshlrev_b32_e32 v25, 1, v59
	v_add_nc_u32_e32 v26, -1, v108
	v_add_nc_u32_e32 v37, 0x80, v57
	v_lshrrev_b32_e32 v33, 31, v57
	v_add_nc_u32_e32 v130, v109, v126
	s_wait_loadcnt 0x7
	ds_store_b128 v25, v[53:56]
	v_ashrrev_i32_e32 v25, 31, v108
	v_ashrrev_i32_e32 v27, 31, v26
	v_lshrrev_b32_e32 v38, 31, v37
	v_add_nc_u32_e32 v33, v57, v33
	v_add_nc_u32_e64 v134, 4, s7
	v_lshrrev_b32_e32 v25, 28, v25
	v_lshrrev_b32_e32 v27, 28, v27
	v_add_nc_u32_e32 v37, v37, v38
	v_add_nc_u32_e32 v129, v109, v122
	;; [unrolled: 1-line block ×5, first 2 shown]
	v_ashrrev_i32_e32 v33, 1, v33
	v_ashrrev_i32_e32 v37, 1, v37
	buffer_load_b128 v[29:32], v29, s[0:3], null offen
	v_and_b32_e32 v25, -16, v25
	v_and_b32_e32 v27, -16, v27
	s_clause 0x1
	buffer_load_b128 v[33:36], v33, s[8:11], null offen
	buffer_load_b128 v[37:40], v37, s[8:11], null offen
	v_sub_nc_u32_e32 v25, v108, v25
	v_sub_nc_u32_e32 v26, v26, v27
	s_delay_alu instid0(VALU_DEP_2) | instskip(NEXT) | instid1(VALU_DEP_1)
	v_xor_b32_e32 v131, v25, v105
	v_sub_nc_u32_e32 v25, v131, v113
	s_delay_alu instid0(VALU_DEP_3) | instskip(NEXT) | instid1(VALU_DEP_2)
	v_xor_b32_e32 v113, v26, v105
	v_lshlrev_b32_e32 v25, 3, v25
	s_delay_alu instid0(VALU_DEP_2) | instskip(NEXT) | instid1(VALU_DEP_2)
	v_sub_nc_u32_e32 v26, v113, v131
	v_add3_u32 v25, v59, v112, v25
	s_delay_alu instid0(VALU_DEP_2) | instskip(NEXT) | instid1(VALU_DEP_2)
	v_lshl_add_u32 v127, v26, 3, 0xffffff80
	v_lshlrev_b32_e32 v132, 1, v25
	s_delay_alu instid0(VALU_DEP_2) | instskip(SKIP_4) | instid1(VALU_DEP_1)
	v_add_nc_u32_e32 v133, v127, v25
	v_lshrrev_b32_e32 v25, 31, v111
	s_wait_loadcnt 0x9
	ds_store_b128 v132, v[49:52]
	v_add_nc_u32_e32 v25, v111, v25
	v_ashrrev_i32_e32 v25, 1, v25
	s_wait_loadcnt 0x8
	ds_store_b128 v25, v[41:44] offset:4096
	v_add_nc_u32_e32 v25, v111, v123
	v_sub_nc_u32_e32 v41, v134, v58
	s_delay_alu instid0(VALU_DEP_2) | instskip(SKIP_1) | instid1(VALU_DEP_3)
	v_lshrrev_b32_e32 v26, 31, v25
	v_add_nc_u32_e32 v111, v25, v125
	v_mad_co_u64_u32 v[101:102], null, v41, s12, v[57:58]
	s_delay_alu instid0(VALU_DEP_3) | instskip(NEXT) | instid1(VALU_DEP_1)
	v_add_nc_u32_e32 v26, v25, v26
	v_ashrrev_i32_e32 v128, 1, v26
	buffer_load_b128 v[25:28], v129, s[0:3], null offen offset:768
	s_wait_loadcnt 0x8
	ds_store_b128 v128, v[45:48] offset:4096
	s_wait_dscnt 0x0
	s_barrier_signal -1
	s_barrier_wait -1
	ds_load_b128 v[69:72], v110
	ds_load_b128 v[65:68], v115
	;; [unrolled: 1-line block ×8, first 2 shown]
	ds_load_b128 v[84:87], v124 offset:4096
	ds_load_b128 v[135:138], v106 offset:4096
	s_wait_dscnt 0x1
	v_lshrrev_b32_e32 v74, 4, v84
	v_lshrrev_b32_e32 v76, 12, v84
	v_and_or_b32 v73, v84, 15, 0x4b000000
	v_lshrrev_b32_e32 v75, 8, v84
	v_lshrrev_b32_e32 v80, 12, v85
	v_and_or_b32 v74, v74, 15, 0x4b000000
	v_and_or_b32 v76, v76, 15, 0x4b000000
	v_add_f32_e32 v73, 0xcb000008, v73
	v_and_or_b32 v75, v75, 15, 0x4b000000
	v_and_or_b32 v80, v80, 15, 0x4b000000
	v_add_f32_e32 v74, 0xcb000008, v74
	v_add_f32_e32 v76, 0xcb000008, v76
	s_wait_dscnt 0x0
	v_lshrrev_b32_e32 v92, 12, v135
	v_dual_add_f32 v75, 0xcb000008, v75 :: v_dual_add_f32 v80, 0xcb000008, v80
	v_lshrrev_b32_e32 v74, 16, v74
	v_lshrrev_b32_e32 v89, 12, v87
	s_delay_alu instid0(VALU_DEP_4)
	v_and_or_b32 v92, v92, 15, 0x4b000000
	v_lshrrev_b32_e32 v96, 12, v136
	v_lshrrev_b32_e32 v100, 12, v137
	v_and_or_b32 v73, 0xffff0000, v73, v74
	v_lshrrev_b32_e32 v74, 16, v76
	v_and_or_b32 v89, v89, 15, 0x4b000000
	v_and_or_b32 v96, v96, 15, 0x4b000000
	v_and_or_b32 v100, v100, 15, 0x4b000000
	v_add_f32_e32 v92, 0xcb000008, v92
	v_and_or_b32 v74, 0xffff0000, v75, v74
	v_ashrrev_i32_e32 v75, 16, v84
	v_lshrrev_b32_e32 v84, 12, v86
	v_dual_add_f32 v89, 0xcb000008, v89 :: v_dual_add_f32 v96, 0xcb000008, v96
	v_add_f32_e32 v100, 0xcb000008, v100
	s_delay_alu instid0(VALU_DEP_4)
	v_lshrrev_b32_e32 v77, 4, v75
	v_and_or_b32 v76, v75, 15, 0x4b000000
	v_lshrrev_b32_e32 v78, 8, v75
	v_lshrrev_b32_e32 v75, 12, v75
	v_and_or_b32 v84, v84, 15, 0x4b000000
	v_and_or_b32 v77, v77, 15, 0x4b000000
	v_add_f32_e32 v76, 0xcb000008, v76
	v_and_or_b32 v78, v78, 15, 0x4b000000
	v_and_or_b32 v75, v75, 15, 0x4b000000
	s_delay_alu instid0(VALU_DEP_4) | instskip(NEXT) | instid1(VALU_DEP_2)
	v_dual_add_f32 v84, 0xcb000008, v84 :: v_dual_add_f32 v77, 0xcb000008, v77
	v_dual_add_f32 v78, 0xcb000008, v78 :: v_dual_add_f32 v79, 0xcb000008, v75
	s_delay_alu instid0(VALU_DEP_2) | instskip(SKIP_1) | instid1(VALU_DEP_2)
	v_lshrrev_b32_e32 v75, 16, v77
	v_and_or_b32 v77, v85, 15, 0x4b000000
	v_and_or_b32 v75, 0xffff0000, v76, v75
	s_delay_alu instid0(VALU_DEP_4) | instskip(SKIP_1) | instid1(VALU_DEP_4)
	v_lshrrev_b32_e32 v76, 16, v79
	v_lshrrev_b32_e32 v79, 8, v85
	v_add_f32_e32 v77, 0xcb000008, v77
	s_delay_alu instid0(VALU_DEP_3) | instskip(SKIP_1) | instid1(VALU_DEP_4)
	v_and_or_b32 v76, 0xffff0000, v78, v76
	v_lshrrev_b32_e32 v78, 4, v85
	v_and_or_b32 v79, v79, 15, 0x4b000000
	s_delay_alu instid0(VALU_DEP_2) | instskip(NEXT) | instid1(VALU_DEP_1)
	v_and_or_b32 v78, v78, 15, 0x4b000000
	v_dual_add_f32 v79, 0xcb000008, v79 :: v_dual_add_f32 v78, 0xcb000008, v78
	s_delay_alu instid0(VALU_DEP_1) | instskip(NEXT) | instid1(VALU_DEP_1)
	v_lshrrev_b32_e32 v78, 16, v78
	v_and_or_b32 v77, 0xffff0000, v77, v78
	v_lshrrev_b32_e32 v78, 16, v80
	s_delay_alu instid0(VALU_DEP_1) | instskip(SKIP_1) | instid1(VALU_DEP_1)
	v_and_or_b32 v78, 0xffff0000, v79, v78
	v_ashrrev_i32_e32 v79, 16, v85
	v_lshrrev_b32_e32 v81, 4, v79
	v_and_or_b32 v80, v79, 15, 0x4b000000
	v_lshrrev_b32_e32 v82, 8, v79
	v_lshrrev_b32_e32 v79, 12, v79
	s_delay_alu instid0(VALU_DEP_4) | instskip(NEXT) | instid1(VALU_DEP_4)
	v_and_or_b32 v81, v81, 15, 0x4b000000
	v_add_f32_e32 v80, 0xcb000008, v80
	s_delay_alu instid0(VALU_DEP_4) | instskip(NEXT) | instid1(VALU_DEP_4)
	v_and_or_b32 v82, v82, 15, 0x4b000000
	v_and_or_b32 v79, v79, 15, 0x4b000000
	s_delay_alu instid0(VALU_DEP_2) | instskip(NEXT) | instid1(VALU_DEP_2)
	v_dual_add_f32 v81, 0xcb000008, v81 :: v_dual_add_f32 v82, 0xcb000008, v82
	v_add_f32_e32 v83, 0xcb000008, v79
	s_delay_alu instid0(VALU_DEP_2) | instskip(SKIP_1) | instid1(VALU_DEP_2)
	v_lshrrev_b32_e32 v79, 16, v81
	v_and_or_b32 v81, v86, 15, 0x4b000000
	v_and_or_b32 v79, 0xffff0000, v80, v79
	s_delay_alu instid0(VALU_DEP_4) | instskip(SKIP_1) | instid1(VALU_DEP_4)
	v_lshrrev_b32_e32 v80, 16, v83
	v_lshrrev_b32_e32 v83, 8, v86
	v_add_f32_e32 v81, 0xcb000008, v81
	s_delay_alu instid0(VALU_DEP_3) | instskip(SKIP_1) | instid1(VALU_DEP_4)
	v_and_or_b32 v80, 0xffff0000, v82, v80
	v_lshrrev_b32_e32 v82, 4, v86
	v_and_or_b32 v83, v83, 15, 0x4b000000
	s_delay_alu instid0(VALU_DEP_2) | instskip(NEXT) | instid1(VALU_DEP_1)
	v_and_or_b32 v82, v82, 15, 0x4b000000
	v_dual_add_f32 v83, 0xcb000008, v83 :: v_dual_add_f32 v82, 0xcb000008, v82
	s_delay_alu instid0(VALU_DEP_1) | instskip(NEXT) | instid1(VALU_DEP_1)
	v_lshrrev_b32_e32 v82, 16, v82
	v_and_or_b32 v81, 0xffff0000, v81, v82
	v_lshrrev_b32_e32 v82, 16, v84
	s_delay_alu instid0(VALU_DEP_1) | instskip(SKIP_1) | instid1(VALU_DEP_1)
	v_and_or_b32 v82, 0xffff0000, v83, v82
	v_ashrrev_i32_e32 v83, 16, v86
	v_lshrrev_b32_e32 v85, 4, v83
	v_and_or_b32 v84, v83, 15, 0x4b000000
	v_lshrrev_b32_e32 v86, 8, v83
	v_lshrrev_b32_e32 v83, 12, v83
	s_delay_alu instid0(VALU_DEP_4) | instskip(NEXT) | instid1(VALU_DEP_4)
	v_and_or_b32 v85, v85, 15, 0x4b000000
	v_add_f32_e32 v84, 0xcb000008, v84
	s_delay_alu instid0(VALU_DEP_4) | instskip(NEXT) | instid1(VALU_DEP_4)
	v_and_or_b32 v86, v86, 15, 0x4b000000
	v_and_or_b32 v83, v83, 15, 0x4b000000
	s_delay_alu instid0(VALU_DEP_2) | instskip(NEXT) | instid1(VALU_DEP_2)
	v_dual_add_f32 v85, 0xcb000008, v85 :: v_dual_add_f32 v86, 0xcb000008, v86
	v_add_f32_e32 v88, 0xcb000008, v83
	s_delay_alu instid0(VALU_DEP_2) | instskip(SKIP_1) | instid1(VALU_DEP_2)
	v_lshrrev_b32_e32 v83, 16, v85
	v_and_or_b32 v85, v87, 15, 0x4b000000
	v_and_or_b32 v83, 0xffff0000, v84, v83
	s_delay_alu instid0(VALU_DEP_4) | instskip(SKIP_1) | instid1(VALU_DEP_4)
	v_lshrrev_b32_e32 v84, 16, v88
	v_lshrrev_b32_e32 v88, 8, v87
	v_add_f32_e32 v85, 0xcb000008, v85
	s_delay_alu instid0(VALU_DEP_3) | instskip(SKIP_1) | instid1(VALU_DEP_4)
	v_and_or_b32 v84, 0xffff0000, v86, v84
	v_lshrrev_b32_e32 v86, 4, v87
	v_and_or_b32 v88, v88, 15, 0x4b000000
	v_ashrrev_i32_e32 v87, 16, v87
	s_delay_alu instid0(VALU_DEP_3) | instskip(NEXT) | instid1(VALU_DEP_3)
	v_and_or_b32 v86, v86, 15, 0x4b000000
	v_add_f32_e32 v88, 0xcb000008, v88
	s_delay_alu instid0(VALU_DEP_3) | instskip(NEXT) | instid1(VALU_DEP_3)
	v_lshrrev_b32_e32 v90, 8, v87
	v_add_f32_e32 v86, 0xcb000008, v86
	s_delay_alu instid0(VALU_DEP_2) | instskip(NEXT) | instid1(VALU_DEP_2)
	v_and_or_b32 v90, v90, 15, 0x4b000000
	v_lshrrev_b32_e32 v86, 16, v86
	s_delay_alu instid0(VALU_DEP_2) | instskip(NEXT) | instid1(VALU_DEP_2)
	v_add_f32_e32 v90, 0xcb000008, v90
	v_and_or_b32 v85, 0xffff0000, v85, v86
	v_lshrrev_b32_e32 v86, 16, v89
	v_lshrrev_b32_e32 v89, 4, v87
	s_delay_alu instid0(VALU_DEP_2) | instskip(SKIP_1) | instid1(VALU_DEP_3)
	v_and_or_b32 v86, 0xffff0000, v88, v86
	v_and_or_b32 v88, v87, 15, 0x4b000000
	;; [unrolled: 1-line block ×3, first 2 shown]
	v_lshrrev_b32_e32 v87, 12, v87
	s_delay_alu instid0(VALU_DEP_2) | instskip(NEXT) | instid1(VALU_DEP_2)
	v_dual_add_f32 v88, 0xcb000008, v88 :: v_dual_add_f32 v89, 0xcb000008, v89
	v_and_or_b32 v87, v87, 15, 0x4b000000
	s_delay_alu instid0(VALU_DEP_1) | instskip(NEXT) | instid1(VALU_DEP_3)
	v_add_f32_e32 v91, 0xcb000008, v87
	v_lshrrev_b32_e32 v87, 16, v89
	v_and_or_b32 v89, v135, 15, 0x4b000000
	s_delay_alu instid0(VALU_DEP_2) | instskip(NEXT) | instid1(VALU_DEP_4)
	v_and_or_b32 v87, 0xffff0000, v88, v87
	v_lshrrev_b32_e32 v88, 16, v91
	v_lshrrev_b32_e32 v91, 8, v135
	s_delay_alu instid0(VALU_DEP_4) | instskip(NEXT) | instid1(VALU_DEP_3)
	v_add_f32_e32 v89, 0xcb000008, v89
	v_and_or_b32 v88, 0xffff0000, v90, v88
	v_lshrrev_b32_e32 v90, 4, v135
	s_delay_alu instid0(VALU_DEP_4) | instskip(NEXT) | instid1(VALU_DEP_2)
	v_and_or_b32 v91, v91, 15, 0x4b000000
	v_and_or_b32 v90, v90, 15, 0x4b000000
	s_delay_alu instid0(VALU_DEP_1) | instskip(NEXT) | instid1(VALU_DEP_1)
	v_dual_add_f32 v91, 0xcb000008, v91 :: v_dual_add_f32 v90, 0xcb000008, v90
	v_lshrrev_b32_e32 v90, 16, v90
	s_delay_alu instid0(VALU_DEP_1) | instskip(SKIP_1) | instid1(VALU_DEP_1)
	v_and_or_b32 v89, 0xffff0000, v89, v90
	v_lshrrev_b32_e32 v90, 16, v92
	v_and_or_b32 v90, 0xffff0000, v91, v90
	v_ashrrev_i32_e32 v91, 16, v135
	s_delay_alu instid0(VALU_DEP_1) | instskip(SKIP_3) | instid1(VALU_DEP_4)
	v_lshrrev_b32_e32 v93, 4, v91
	v_and_or_b32 v92, v91, 15, 0x4b000000
	v_lshrrev_b32_e32 v94, 8, v91
	v_lshrrev_b32_e32 v91, 12, v91
	v_and_or_b32 v93, v93, 15, 0x4b000000
	s_delay_alu instid0(VALU_DEP_4) | instskip(NEXT) | instid1(VALU_DEP_4)
	v_add_f32_e32 v92, 0xcb000008, v92
	v_and_or_b32 v94, v94, 15, 0x4b000000
	s_delay_alu instid0(VALU_DEP_4) | instskip(NEXT) | instid1(VALU_DEP_2)
	v_and_or_b32 v91, v91, 15, 0x4b000000
	v_dual_add_f32 v93, 0xcb000008, v93 :: v_dual_add_f32 v94, 0xcb000008, v94
	s_delay_alu instid0(VALU_DEP_2) | instskip(NEXT) | instid1(VALU_DEP_2)
	v_add_f32_e32 v95, 0xcb000008, v91
	v_lshrrev_b32_e32 v91, 16, v93
	v_and_or_b32 v93, v136, 15, 0x4b000000
	s_delay_alu instid0(VALU_DEP_2) | instskip(NEXT) | instid1(VALU_DEP_4)
	v_and_or_b32 v91, 0xffff0000, v92, v91
	v_lshrrev_b32_e32 v92, 16, v95
	v_lshrrev_b32_e32 v95, 8, v136
	s_delay_alu instid0(VALU_DEP_4) | instskip(NEXT) | instid1(VALU_DEP_3)
	v_add_f32_e32 v93, 0xcb000008, v93
	v_and_or_b32 v92, 0xffff0000, v94, v92
	v_lshrrev_b32_e32 v94, 4, v136
	s_delay_alu instid0(VALU_DEP_4) | instskip(NEXT) | instid1(VALU_DEP_2)
	v_and_or_b32 v95, v95, 15, 0x4b000000
	v_and_or_b32 v94, v94, 15, 0x4b000000
	s_delay_alu instid0(VALU_DEP_1) | instskip(NEXT) | instid1(VALU_DEP_1)
	v_dual_add_f32 v95, 0xcb000008, v95 :: v_dual_add_f32 v94, 0xcb000008, v94
	v_lshrrev_b32_e32 v94, 16, v94
	s_delay_alu instid0(VALU_DEP_1) | instskip(SKIP_1) | instid1(VALU_DEP_1)
	v_and_or_b32 v93, 0xffff0000, v93, v94
	v_lshrrev_b32_e32 v94, 16, v96
	v_and_or_b32 v94, 0xffff0000, v95, v94
	v_ashrrev_i32_e32 v95, 16, v136
	s_delay_alu instid0(VALU_DEP_1) | instskip(SKIP_3) | instid1(VALU_DEP_4)
	v_lshrrev_b32_e32 v97, 4, v95
	v_and_or_b32 v96, v95, 15, 0x4b000000
	v_lshrrev_b32_e32 v98, 8, v95
	v_lshrrev_b32_e32 v95, 12, v95
	v_and_or_b32 v97, v97, 15, 0x4b000000
	s_delay_alu instid0(VALU_DEP_4) | instskip(NEXT) | instid1(VALU_DEP_4)
	v_add_f32_e32 v96, 0xcb000008, v96
	v_and_or_b32 v98, v98, 15, 0x4b000000
	s_delay_alu instid0(VALU_DEP_4) | instskip(NEXT) | instid1(VALU_DEP_2)
	v_and_or_b32 v95, v95, 15, 0x4b000000
	v_dual_add_f32 v97, 0xcb000008, v97 :: v_dual_add_f32 v98, 0xcb000008, v98
	s_delay_alu instid0(VALU_DEP_2) | instskip(NEXT) | instid1(VALU_DEP_2)
	v_add_f32_e32 v99, 0xcb000008, v95
	v_lshrrev_b32_e32 v95, 16, v97
	v_and_or_b32 v97, v137, 15, 0x4b000000
	s_delay_alu instid0(VALU_DEP_2) | instskip(NEXT) | instid1(VALU_DEP_4)
	v_and_or_b32 v95, 0xffff0000, v96, v95
	v_lshrrev_b32_e32 v96, 16, v99
	v_lshrrev_b32_e32 v99, 8, v137
	s_delay_alu instid0(VALU_DEP_4) | instskip(NEXT) | instid1(VALU_DEP_3)
	v_add_f32_e32 v97, 0xcb000008, v97
	v_and_or_b32 v96, 0xffff0000, v98, v96
	v_lshrrev_b32_e32 v98, 4, v137
	s_delay_alu instid0(VALU_DEP_4) | instskip(NEXT) | instid1(VALU_DEP_2)
	v_and_or_b32 v99, v99, 15, 0x4b000000
	v_and_or_b32 v98, v98, 15, 0x4b000000
	s_delay_alu instid0(VALU_DEP_1) | instskip(NEXT) | instid1(VALU_DEP_1)
	v_dual_add_f32 v99, 0xcb000008, v99 :: v_dual_add_f32 v98, 0xcb000008, v98
	v_lshrrev_b32_e32 v98, 16, v98
	s_delay_alu instid0(VALU_DEP_1) | instskip(SKIP_1) | instid1(VALU_DEP_1)
	v_and_or_b32 v97, 0xffff0000, v97, v98
	v_lshrrev_b32_e32 v98, 16, v100
	v_and_or_b32 v98, 0xffff0000, v99, v98
	v_ashrrev_i32_e32 v99, 16, v137
	v_lshrrev_b32_e32 v137, 12, v138
	s_delay_alu instid0(VALU_DEP_2)
	v_lshrrev_b32_e32 v102, 4, v99
	v_and_or_b32 v100, v99, 15, 0x4b000000
	v_lshrrev_b32_e32 v135, 8, v99
	v_lshrrev_b32_e32 v99, 12, v99
	v_and_or_b32 v137, v137, 15, 0x4b000000
	v_and_or_b32 v102, v102, 15, 0x4b000000
	v_add_f32_e32 v100, 0xcb000008, v100
	v_and_or_b32 v135, v135, 15, 0x4b000000
	v_and_or_b32 v99, v99, 15, 0x4b000000
	s_delay_alu instid0(VALU_DEP_4) | instskip(NEXT) | instid1(VALU_DEP_3)
	v_dual_add_f32 v137, 0xcb000008, v137 :: v_dual_add_f32 v102, 0xcb000008, v102
	v_add_f32_e32 v135, 0xcb000008, v135
	s_delay_alu instid0(VALU_DEP_3) | instskip(NEXT) | instid1(VALU_DEP_3)
	v_add_f32_e32 v136, 0xcb000008, v99
	v_lshrrev_b32_e32 v99, 16, v102
	v_and_or_b32 v102, v138, 15, 0x4b000000
	s_delay_alu instid0(VALU_DEP_2) | instskip(NEXT) | instid1(VALU_DEP_4)
	v_and_or_b32 v99, 0xffff0000, v100, v99
	v_lshrrev_b32_e32 v100, 16, v136
	v_lshrrev_b32_e32 v136, 8, v138
	s_delay_alu instid0(VALU_DEP_4) | instskip(NEXT) | instid1(VALU_DEP_3)
	v_add_f32_e32 v102, 0xcb000008, v102
	v_and_or_b32 v100, 0xffff0000, v135, v100
	v_lshrrev_b32_e32 v135, 4, v138
	s_delay_alu instid0(VALU_DEP_4) | instskip(NEXT) | instid1(VALU_DEP_2)
	v_and_or_b32 v136, v136, 15, 0x4b000000
	v_and_or_b32 v135, v135, 15, 0x4b000000
	s_delay_alu instid0(VALU_DEP_1) | instskip(NEXT) | instid1(VALU_DEP_1)
	v_dual_add_f32 v136, 0xcb000008, v136 :: v_dual_add_f32 v135, 0xcb000008, v135
	v_lshrrev_b32_e32 v135, 16, v135
	s_delay_alu instid0(VALU_DEP_1) | instskip(SKIP_1) | instid1(VALU_DEP_1)
	v_and_or_b32 v135, 0xffff0000, v102, v135
	v_lshrrev_b32_e32 v102, 16, v137
	v_and_or_b32 v136, 0xffff0000, v136, v102
	v_ashrrev_i32_e32 v102, 16, v138
	s_delay_alu instid0(VALU_DEP_1) | instskip(SKIP_3) | instid1(VALU_DEP_4)
	v_and_or_b32 v137, v102, 15, 0x4b000000
	v_lshrrev_b32_e32 v138, 4, v102
	v_lshrrev_b32_e32 v139, 8, v102
	;; [unrolled: 1-line block ×3, first 2 shown]
	v_add_f32_e32 v137, 0xcb000008, v137
	s_delay_alu instid0(VALU_DEP_4) | instskip(NEXT) | instid1(VALU_DEP_4)
	v_and_or_b32 v138, v138, 15, 0x4b000000
	v_and_or_b32 v139, v139, 15, 0x4b000000
	s_delay_alu instid0(VALU_DEP_4) | instskip(NEXT) | instid1(VALU_DEP_2)
	v_and_or_b32 v102, v102, 15, 0x4b000000
	v_dual_add_f32 v138, 0xcb000008, v138 :: v_dual_add_f32 v139, 0xcb000008, v139
	s_delay_alu instid0(VALU_DEP_2) | instskip(NEXT) | instid1(VALU_DEP_2)
	v_add_f32_e32 v102, 0xcb000008, v102
	v_lshrrev_b32_e32 v138, 16, v138
	s_delay_alu instid0(VALU_DEP_2) | instskip(NEXT) | instid1(VALU_DEP_2)
	v_lshrrev_b32_e32 v102, 16, v102
	v_and_or_b32 v137, 0xffff0000, v137, v138
	s_delay_alu instid0(VALU_DEP_2) | instskip(SKIP_3) | instid1(VALU_DEP_1)
	v_and_or_b32 v138, 0xffff0000, v139, v102
	; sched_barrier mask(0x00000000)
	s_barrier_signal -1
	s_barrier_wait -1
	; sched_barrier mask(0x00000000)
	v_wmma_f32_16x16x16_bf16 v[1:8], v[73:76], v[69:72], v[1:8]
	v_wmma_f32_16x16x16_bf16 v[1:8], v[77:80], v[65:68], v[1:8]
	s_delay_alu instid0(VALU_DEP_1) | instskip(NEXT) | instid1(VALU_DEP_1)
	v_wmma_f32_16x16x16_bf16 v[1:8], v[81:84], v[61:64], v[1:8]
	v_wmma_f32_16x16x16_bf16 v[1:8], v[85:88], v[57:60], v[1:8]
	; sched_barrier mask(0x00000000)
	s_setprio 1
	; sched_barrier mask(0x00000000)
	; sched_barrier mask(0x00000000)
	s_wait_dscnt 0x0
	s_barrier_signal -1
	s_barrier_wait -1
	; sched_barrier mask(0x00000000)
	v_wmma_f32_16x16x16_bf16 v[1:8], v[89:92], v[53:56], v[1:8]
	s_delay_alu instid0(VALU_DEP_1) | instskip(NEXT) | instid1(VALU_DEP_1)
	v_wmma_f32_16x16x16_bf16 v[1:8], v[93:96], v[49:52], v[1:8]
	v_wmma_f32_16x16x16_bf16 v[1:8], v[97:100], v[45:48], v[1:8]
	s_delay_alu instid0(VALU_DEP_1) | instskip(SKIP_3) | instid1(VALU_DEP_2)
	v_wmma_f32_16x16x16_bf16 v[1:8], v[135:138], v[41:44], v[1:8]
	; sched_barrier mask(0x00000000)
	s_setprio 0
	; sched_barrier mask(0x00000000)
	v_lshlrev_b32_e32 v93, 1, v127
	v_add_nc_u32_e64 v97, 5, s7
	v_add_nc_u32_e32 v41, v132, v93
	s_wait_loadcnt 0x7
	ds_store_b128 v41, v[21:24]
	v_sub_nc_u32_e32 v21, v131, v113
	s_delay_alu instid0(VALU_DEP_1) | instskip(NEXT) | instid1(VALU_DEP_1)
	v_lshl_add_u32 v94, v21, 3, 0x80
	v_lshlrev_b32_e32 v91, 1, v94
	v_add3_u32 v96, v133, v94, v127
	s_delay_alu instid0(VALU_DEP_2) | instskip(SKIP_3) | instid1(VALU_DEP_1)
	v_add_nc_u32_e32 v95, v41, v91
	s_wait_loadcnt 0x6
	ds_store_b128 v95, v[17:20]
	v_lshrrev_b32_e32 v17, 31, v111
	v_add_nc_u32_e32 v17, v111, v17
	s_delay_alu instid0(VALU_DEP_1)
	v_ashrrev_i32_e32 v92, 1, v17
	s_wait_loadcnt 0x5
	ds_store_b128 v92, v[9:12] offset:4096
	s_wait_loadcnt 0x4
	ds_store_b128 v128, v[13:16] offset:4096
	v_add_nc_u32_e32 v9, 0xffffff00, v130
	s_clause 0x1
	buffer_load_b128 v[53:56], v129, s[0:3], null offen offset:1024
	buffer_load_b128 v[49:52], v9, s[0:3], null offen
	v_lshrrev_b32_e32 v9, 31, v101
	s_delay_alu instid0(VALU_DEP_1) | instskip(NEXT) | instid1(VALU_DEP_1)
	v_add_nc_u32_e32 v9, v101, v9
	v_ashrrev_i32_e32 v9, 1, v9
	buffer_load_b128 v[41:44], v9, s[8:11], null offen
	v_add_nc_u32_e32 v9, 0x80, v101
	s_delay_alu instid0(VALU_DEP_1) | instskip(NEXT) | instid1(VALU_DEP_1)
	v_lshrrev_b32_e32 v10, 31, v9
	v_add_nc_u32_e32 v9, v9, v10
	s_delay_alu instid0(VALU_DEP_1)
	v_ashrrev_i32_e32 v9, 1, v9
	buffer_load_b128 v[45:48], v9, s[8:11], null offen
	v_sub_nc_u32_e32 v9, v97, v134
	s_wait_dscnt 0x0
	s_barrier_signal -1
	s_barrier_wait -1
	s_delay_alu instid0(VALU_DEP_1)
	v_mad_co_u64_u32 v[89:90], null, v9, s12, v[101:102]
	ds_load_b128 v[69:72], v110
	ds_load_b128 v[65:68], v115
	;; [unrolled: 1-line block ×8, first 2 shown]
	ds_load_b128 v[84:87], v124 offset:4096
	s_wait_dscnt 0x0
	v_lshrrev_b32_e32 v74, 4, v84
	v_lshrrev_b32_e32 v76, 12, v84
	v_and_or_b32 v73, v84, 15, 0x4b000000
	v_lshrrev_b32_e32 v75, 8, v84
	v_lshrrev_b32_e32 v80, 12, v85
	v_and_or_b32 v74, v74, 15, 0x4b000000
	v_and_or_b32 v76, v76, 15, 0x4b000000
	v_add_f32_e32 v73, 0xcb000008, v73
	v_and_or_b32 v75, v75, 15, 0x4b000000
	v_and_or_b32 v80, v80, 15, 0x4b000000
	v_add_f32_e32 v74, 0xcb000008, v74
	v_add_f32_e32 v76, 0xcb000008, v76
	v_lshrrev_b32_e32 v90, 12, v87
	s_delay_alu instid0(VALU_DEP_4) | instskip(NEXT) | instid1(VALU_DEP_4)
	v_dual_add_f32 v75, 0xcb000008, v75 :: v_dual_add_f32 v80, 0xcb000008, v80
	v_lshrrev_b32_e32 v74, 16, v74
	s_delay_alu instid0(VALU_DEP_3) | instskip(NEXT) | instid1(VALU_DEP_2)
	v_and_or_b32 v90, v90, 15, 0x4b000000
	v_and_or_b32 v73, 0xffff0000, v73, v74
	v_lshrrev_b32_e32 v74, 16, v76
	s_delay_alu instid0(VALU_DEP_3) | instskip(NEXT) | instid1(VALU_DEP_2)
	v_add_f32_e32 v90, 0xcb000008, v90
	v_and_or_b32 v74, 0xffff0000, v75, v74
	v_ashrrev_i32_e32 v75, 16, v84
	v_lshrrev_b32_e32 v84, 12, v86
	s_delay_alu instid0(VALU_DEP_2)
	v_lshrrev_b32_e32 v77, 4, v75
	v_and_or_b32 v76, v75, 15, 0x4b000000
	v_lshrrev_b32_e32 v78, 8, v75
	v_lshrrev_b32_e32 v75, 12, v75
	v_and_or_b32 v84, v84, 15, 0x4b000000
	v_and_or_b32 v77, v77, 15, 0x4b000000
	v_add_f32_e32 v76, 0xcb000008, v76
	v_and_or_b32 v78, v78, 15, 0x4b000000
	v_and_or_b32 v75, v75, 15, 0x4b000000
	s_delay_alu instid0(VALU_DEP_4) | instskip(NEXT) | instid1(VALU_DEP_2)
	v_dual_add_f32 v84, 0xcb000008, v84 :: v_dual_add_f32 v77, 0xcb000008, v77
	v_dual_add_f32 v78, 0xcb000008, v78 :: v_dual_add_f32 v79, 0xcb000008, v75
	s_delay_alu instid0(VALU_DEP_2) | instskip(SKIP_1) | instid1(VALU_DEP_2)
	v_lshrrev_b32_e32 v75, 16, v77
	v_and_or_b32 v77, v85, 15, 0x4b000000
	v_and_or_b32 v75, 0xffff0000, v76, v75
	s_delay_alu instid0(VALU_DEP_4) | instskip(SKIP_1) | instid1(VALU_DEP_4)
	v_lshrrev_b32_e32 v76, 16, v79
	v_lshrrev_b32_e32 v79, 8, v85
	v_add_f32_e32 v77, 0xcb000008, v77
	s_delay_alu instid0(VALU_DEP_3) | instskip(SKIP_1) | instid1(VALU_DEP_4)
	v_and_or_b32 v76, 0xffff0000, v78, v76
	v_lshrrev_b32_e32 v78, 4, v85
	v_and_or_b32 v79, v79, 15, 0x4b000000
	s_delay_alu instid0(VALU_DEP_2) | instskip(NEXT) | instid1(VALU_DEP_1)
	v_and_or_b32 v78, v78, 15, 0x4b000000
	v_dual_add_f32 v79, 0xcb000008, v79 :: v_dual_add_f32 v78, 0xcb000008, v78
	s_delay_alu instid0(VALU_DEP_1) | instskip(NEXT) | instid1(VALU_DEP_1)
	v_lshrrev_b32_e32 v78, 16, v78
	v_and_or_b32 v77, 0xffff0000, v77, v78
	v_lshrrev_b32_e32 v78, 16, v80
	s_delay_alu instid0(VALU_DEP_1) | instskip(SKIP_1) | instid1(VALU_DEP_1)
	v_and_or_b32 v78, 0xffff0000, v79, v78
	v_ashrrev_i32_e32 v79, 16, v85
	v_lshrrev_b32_e32 v81, 4, v79
	v_and_or_b32 v80, v79, 15, 0x4b000000
	v_lshrrev_b32_e32 v82, 8, v79
	v_lshrrev_b32_e32 v79, 12, v79
	s_delay_alu instid0(VALU_DEP_4) | instskip(NEXT) | instid1(VALU_DEP_4)
	v_and_or_b32 v81, v81, 15, 0x4b000000
	v_add_f32_e32 v80, 0xcb000008, v80
	s_delay_alu instid0(VALU_DEP_4) | instskip(NEXT) | instid1(VALU_DEP_4)
	v_and_or_b32 v82, v82, 15, 0x4b000000
	v_and_or_b32 v79, v79, 15, 0x4b000000
	s_delay_alu instid0(VALU_DEP_2) | instskip(NEXT) | instid1(VALU_DEP_2)
	v_dual_add_f32 v81, 0xcb000008, v81 :: v_dual_add_f32 v82, 0xcb000008, v82
	v_add_f32_e32 v83, 0xcb000008, v79
	s_delay_alu instid0(VALU_DEP_2) | instskip(SKIP_1) | instid1(VALU_DEP_2)
	v_lshrrev_b32_e32 v79, 16, v81
	v_and_or_b32 v81, v86, 15, 0x4b000000
	v_and_or_b32 v79, 0xffff0000, v80, v79
	s_delay_alu instid0(VALU_DEP_4) | instskip(SKIP_1) | instid1(VALU_DEP_4)
	v_lshrrev_b32_e32 v80, 16, v83
	v_lshrrev_b32_e32 v83, 8, v86
	v_add_f32_e32 v81, 0xcb000008, v81
	s_delay_alu instid0(VALU_DEP_3) | instskip(SKIP_1) | instid1(VALU_DEP_4)
	v_and_or_b32 v80, 0xffff0000, v82, v80
	v_lshrrev_b32_e32 v82, 4, v86
	v_and_or_b32 v83, v83, 15, 0x4b000000
	s_delay_alu instid0(VALU_DEP_2) | instskip(NEXT) | instid1(VALU_DEP_1)
	v_and_or_b32 v82, v82, 15, 0x4b000000
	v_dual_add_f32 v83, 0xcb000008, v83 :: v_dual_add_f32 v82, 0xcb000008, v82
	s_delay_alu instid0(VALU_DEP_1) | instskip(NEXT) | instid1(VALU_DEP_1)
	v_lshrrev_b32_e32 v82, 16, v82
	v_and_or_b32 v81, 0xffff0000, v81, v82
	v_lshrrev_b32_e32 v82, 16, v84
	s_delay_alu instid0(VALU_DEP_1) | instskip(SKIP_1) | instid1(VALU_DEP_1)
	v_and_or_b32 v82, 0xffff0000, v83, v82
	v_ashrrev_i32_e32 v83, 16, v86
	v_lshrrev_b32_e32 v85, 4, v83
	v_and_or_b32 v84, v83, 15, 0x4b000000
	v_lshrrev_b32_e32 v86, 8, v83
	v_lshrrev_b32_e32 v83, 12, v83
	s_delay_alu instid0(VALU_DEP_4) | instskip(NEXT) | instid1(VALU_DEP_4)
	v_and_or_b32 v85, v85, 15, 0x4b000000
	v_add_f32_e32 v84, 0xcb000008, v84
	s_delay_alu instid0(VALU_DEP_4) | instskip(NEXT) | instid1(VALU_DEP_4)
	v_and_or_b32 v86, v86, 15, 0x4b000000
	v_and_or_b32 v83, v83, 15, 0x4b000000
	s_delay_alu instid0(VALU_DEP_2) | instskip(NEXT) | instid1(VALU_DEP_2)
	v_dual_add_f32 v85, 0xcb000008, v85 :: v_dual_add_f32 v86, 0xcb000008, v86
	v_add_f32_e32 v88, 0xcb000008, v83
	s_delay_alu instid0(VALU_DEP_2) | instskip(SKIP_1) | instid1(VALU_DEP_2)
	v_lshrrev_b32_e32 v83, 16, v85
	v_and_or_b32 v85, v87, 15, 0x4b000000
	v_and_or_b32 v83, 0xffff0000, v84, v83
	s_delay_alu instid0(VALU_DEP_4) | instskip(SKIP_1) | instid1(VALU_DEP_2)
	v_lshrrev_b32_e32 v84, 16, v88
	v_lshrrev_b32_e32 v88, 8, v87
	v_and_or_b32 v84, 0xffff0000, v86, v84
	v_lshrrev_b32_e32 v86, 4, v87
	v_ashrrev_i32_e32 v87, 16, v87
	s_delay_alu instid0(VALU_DEP_4) | instskip(NEXT) | instid1(VALU_DEP_3)
	v_and_or_b32 v88, v88, 15, 0x4b000000
	v_and_or_b32 v86, v86, 15, 0x4b000000
	s_delay_alu instid0(VALU_DEP_3) | instskip(NEXT) | instid1(VALU_DEP_3)
	v_lshrrev_b32_e32 v98, 8, v87
	v_add_f32_e32 v88, 0xcb000008, v88
	s_delay_alu instid0(VALU_DEP_3) | instskip(NEXT) | instid1(VALU_DEP_3)
	v_add_f32_e32 v86, 0xcb000008, v86
	v_and_or_b32 v98, v98, 15, 0x4b000000
	v_add_f32_e32 v85, 0xcb000008, v85
	s_delay_alu instid0(VALU_DEP_3) | instskip(NEXT) | instid1(VALU_DEP_3)
	v_lshrrev_b32_e32 v86, 16, v86
	v_add_f32_e32 v98, 0xcb000008, v98
	s_delay_alu instid0(VALU_DEP_2) | instskip(SKIP_2) | instid1(VALU_DEP_2)
	v_and_or_b32 v85, 0xffff0000, v85, v86
	v_lshrrev_b32_e32 v86, 16, v90
	v_lshrrev_b32_e32 v90, 4, v87
	v_and_or_b32 v86, 0xffff0000, v88, v86
	v_and_or_b32 v88, v87, 15, 0x4b000000
	s_delay_alu instid0(VALU_DEP_3) | instskip(SKIP_1) | instid1(VALU_DEP_3)
	v_and_or_b32 v90, v90, 15, 0x4b000000
	v_lshrrev_b32_e32 v87, 12, v87
	v_add_f32_e32 v88, 0xcb000008, v88
	s_delay_alu instid0(VALU_DEP_3) | instskip(NEXT) | instid1(VALU_DEP_3)
	v_add_f32_e32 v90, 0xcb000008, v90
	v_and_or_b32 v87, v87, 15, 0x4b000000
	s_delay_alu instid0(VALU_DEP_1) | instskip(NEXT) | instid1(VALU_DEP_3)
	v_add_f32_e32 v99, 0xcb000008, v87
	v_lshrrev_b32_e32 v87, 16, v90
	s_delay_alu instid0(VALU_DEP_1) | instskip(NEXT) | instid1(VALU_DEP_3)
	v_and_or_b32 v87, 0xffff0000, v88, v87
	v_lshrrev_b32_e32 v88, 16, v99
	s_delay_alu instid0(VALU_DEP_1)
	v_and_or_b32 v88, 0xffff0000, v98, v88
	ds_load_b128 v[98:101], v106 offset:4096
	s_wait_dscnt 0x0
	v_lshrrev_b32_e32 v102, 4, v98
	v_lshrrev_b32_e32 v131, 8, v98
	;; [unrolled: 1-line block ×3, first 2 shown]
	v_and_or_b32 v90, v98, 15, 0x4b000000
	v_lshrrev_b32_e32 v135, 12, v99
	v_and_or_b32 v102, v102, 15, 0x4b000000
	v_and_or_b32 v131, v131, 15, 0x4b000000
	;; [unrolled: 1-line block ×3, first 2 shown]
	v_add_f32_e32 v90, 0xcb000008, v90
	v_and_or_b32 v135, v135, 15, 0x4b000000
	s_delay_alu instid0(VALU_DEP_4) | instskip(NEXT) | instid1(VALU_DEP_4)
	v_dual_add_f32 v102, 0xcb000008, v102 :: v_dual_add_f32 v133, 0xcb000008, v131
	v_add_f32_e32 v132, 0xcb000008, v132
	s_delay_alu instid0(VALU_DEP_3) | instskip(NEXT) | instid1(VALU_DEP_3)
	v_add_f32_e32 v136, 0xcb000008, v135
	v_lshrrev_b32_e32 v102, 16, v102
	s_delay_alu instid0(VALU_DEP_1) | instskip(NEXT) | instid1(VALU_DEP_4)
	v_and_or_b32 v131, 0xffff0000, v90, v102
	v_lshrrev_b32_e32 v90, 16, v132
	s_delay_alu instid0(VALU_DEP_1) | instskip(SKIP_1) | instid1(VALU_DEP_1)
	v_and_or_b32 v132, 0xffff0000, v133, v90
	v_ashrrev_i32_e32 v90, 16, v98
	v_lshrrev_b32_e32 v102, 4, v90
	v_and_or_b32 v98, v90, 15, 0x4b000000
	v_lshrrev_b32_e32 v133, 8, v90
	v_lshrrev_b32_e32 v90, 12, v90
	s_delay_alu instid0(VALU_DEP_4) | instskip(NEXT) | instid1(VALU_DEP_4)
	v_and_or_b32 v102, v102, 15, 0x4b000000
	v_add_f32_e32 v98, 0xcb000008, v98
	s_delay_alu instid0(VALU_DEP_4) | instskip(NEXT) | instid1(VALU_DEP_4)
	v_and_or_b32 v133, v133, 15, 0x4b000000
	v_and_or_b32 v90, v90, 15, 0x4b000000
	s_delay_alu instid0(VALU_DEP_4) | instskip(NEXT) | instid1(VALU_DEP_3)
	v_add_f32_e32 v102, 0xcb000008, v102
	v_add_f32_e32 v134, 0xcb000008, v133
	s_delay_alu instid0(VALU_DEP_3) | instskip(NEXT) | instid1(VALU_DEP_3)
	v_add_f32_e32 v90, 0xcb000008, v90
	v_lshrrev_b32_e32 v102, 16, v102
	s_delay_alu instid0(VALU_DEP_2) | instskip(NEXT) | instid1(VALU_DEP_2)
	v_lshrrev_b32_e32 v90, 16, v90
	v_and_or_b32 v133, 0xffff0000, v98, v102
	v_lshrrev_b32_e32 v98, 4, v99
	v_lshrrev_b32_e32 v102, 8, v99
	s_delay_alu instid0(VALU_DEP_4) | instskip(SKIP_1) | instid1(VALU_DEP_4)
	v_and_or_b32 v134, 0xffff0000, v134, v90
	v_and_or_b32 v90, v99, 15, 0x4b000000
	;; [unrolled: 1-line block ×3, first 2 shown]
	s_delay_alu instid0(VALU_DEP_4) | instskip(NEXT) | instid1(VALU_DEP_3)
	v_and_or_b32 v102, v102, 15, 0x4b000000
	v_add_f32_e32 v90, 0xcb000008, v90
	s_delay_alu instid0(VALU_DEP_3) | instskip(NEXT) | instid1(VALU_DEP_3)
	v_add_f32_e32 v98, 0xcb000008, v98
	v_add_f32_e32 v102, 0xcb000008, v102
	s_delay_alu instid0(VALU_DEP_2) | instskip(NEXT) | instid1(VALU_DEP_1)
	v_lshrrev_b32_e32 v98, 16, v98
	v_and_or_b32 v135, 0xffff0000, v90, v98
	v_lshrrev_b32_e32 v90, 16, v136
	s_delay_alu instid0(VALU_DEP_1) | instskip(SKIP_1) | instid1(VALU_DEP_1)
	v_and_or_b32 v136, 0xffff0000, v102, v90
	v_ashrrev_i32_e32 v90, 16, v99
	v_lshrrev_b32_e32 v99, 4, v90
	v_and_or_b32 v98, v90, 15, 0x4b000000
	v_lshrrev_b32_e32 v102, 8, v90
	v_lshrrev_b32_e32 v90, 12, v90
	s_delay_alu instid0(VALU_DEP_4) | instskip(NEXT) | instid1(VALU_DEP_4)
	v_and_or_b32 v99, v99, 15, 0x4b000000
	v_add_f32_e32 v98, 0xcb000008, v98
	s_delay_alu instid0(VALU_DEP_4) | instskip(NEXT) | instid1(VALU_DEP_4)
	v_and_or_b32 v102, v102, 15, 0x4b000000
	v_and_or_b32 v90, v90, 15, 0x4b000000
	s_delay_alu instid0(VALU_DEP_2) | instskip(NEXT) | instid1(VALU_DEP_2)
	v_dual_add_f32 v99, 0xcb000008, v99 :: v_dual_add_f32 v102, 0xcb000008, v102
	v_add_f32_e32 v90, 0xcb000008, v90
	s_delay_alu instid0(VALU_DEP_2) | instskip(NEXT) | instid1(VALU_DEP_2)
	v_lshrrev_b32_e32 v99, 16, v99
	v_lshrrev_b32_e32 v90, 16, v90
	s_delay_alu instid0(VALU_DEP_2) | instskip(SKIP_2) | instid1(VALU_DEP_4)
	v_and_or_b32 v137, 0xffff0000, v98, v99
	v_lshrrev_b32_e32 v98, 4, v100
	v_lshrrev_b32_e32 v99, 8, v100
	v_and_or_b32 v138, 0xffff0000, v102, v90
	v_lshrrev_b32_e32 v102, 12, v100
	v_and_or_b32 v90, v100, 15, 0x4b000000
	v_and_or_b32 v98, v98, 15, 0x4b000000
	;; [unrolled: 1-line block ×3, first 2 shown]
	s_delay_alu instid0(VALU_DEP_4) | instskip(NEXT) | instid1(VALU_DEP_4)
	v_and_or_b32 v102, v102, 15, 0x4b000000
	v_add_f32_e32 v90, 0xcb000008, v90
	s_delay_alu instid0(VALU_DEP_3) | instskip(NEXT) | instid1(VALU_DEP_3)
	v_dual_add_f32 v98, 0xcb000008, v98 :: v_dual_add_f32 v99, 0xcb000008, v99
	v_add_f32_e32 v102, 0xcb000008, v102
	s_delay_alu instid0(VALU_DEP_2) | instskip(NEXT) | instid1(VALU_DEP_1)
	v_lshrrev_b32_e32 v98, 16, v98
	v_and_or_b32 v139, 0xffff0000, v90, v98
	s_delay_alu instid0(VALU_DEP_3) | instskip(NEXT) | instid1(VALU_DEP_1)
	v_lshrrev_b32_e32 v90, 16, v102
	v_and_or_b32 v140, 0xffff0000, v99, v90
	v_ashrrev_i32_e32 v90, 16, v100
	s_delay_alu instid0(VALU_DEP_1) | instskip(SKIP_3) | instid1(VALU_DEP_4)
	v_lshrrev_b32_e32 v99, 4, v90
	v_and_or_b32 v98, v90, 15, 0x4b000000
	v_lshrrev_b32_e32 v100, 8, v90
	v_lshrrev_b32_e32 v90, 12, v90
	v_and_or_b32 v99, v99, 15, 0x4b000000
	s_delay_alu instid0(VALU_DEP_4) | instskip(NEXT) | instid1(VALU_DEP_4)
	v_add_f32_e32 v98, 0xcb000008, v98
	v_and_or_b32 v100, v100, 15, 0x4b000000
	s_delay_alu instid0(VALU_DEP_4) | instskip(NEXT) | instid1(VALU_DEP_2)
	v_and_or_b32 v90, v90, 15, 0x4b000000
	v_dual_add_f32 v99, 0xcb000008, v99 :: v_dual_add_f32 v100, 0xcb000008, v100
	s_delay_alu instid0(VALU_DEP_2) | instskip(NEXT) | instid1(VALU_DEP_2)
	v_add_f32_e32 v90, 0xcb000008, v90
	v_lshrrev_b32_e32 v99, 16, v99
	s_delay_alu instid0(VALU_DEP_2) | instskip(NEXT) | instid1(VALU_DEP_2)
	v_lshrrev_b32_e32 v90, 16, v90
	v_and_or_b32 v141, 0xffff0000, v98, v99
	v_lshrrev_b32_e32 v98, 4, v101
	v_lshrrev_b32_e32 v99, 8, v101
	s_delay_alu instid0(VALU_DEP_4) | instskip(SKIP_4) | instid1(VALU_DEP_4)
	v_and_or_b32 v142, 0xffff0000, v100, v90
	v_lshrrev_b32_e32 v100, 12, v101
	v_and_or_b32 v90, v101, 15, 0x4b000000
	v_and_or_b32 v98, v98, 15, 0x4b000000
	;; [unrolled: 1-line block ×4, first 2 shown]
	s_delay_alu instid0(VALU_DEP_4) | instskip(NEXT) | instid1(VALU_DEP_3)
	v_add_f32_e32 v90, 0xcb000008, v90
	v_dual_add_f32 v98, 0xcb000008, v98 :: v_dual_add_f32 v99, 0xcb000008, v99
	s_delay_alu instid0(VALU_DEP_3) | instskip(NEXT) | instid1(VALU_DEP_2)
	v_add_f32_e32 v100, 0xcb000008, v100
	v_lshrrev_b32_e32 v98, 16, v98
	s_delay_alu instid0(VALU_DEP_1) | instskip(NEXT) | instid1(VALU_DEP_3)
	v_and_or_b32 v98, 0xffff0000, v90, v98
	v_lshrrev_b32_e32 v90, 16, v100
	s_delay_alu instid0(VALU_DEP_1) | instskip(SKIP_1) | instid1(VALU_DEP_1)
	v_and_or_b32 v99, 0xffff0000, v99, v90
	v_ashrrev_i32_e32 v90, 16, v101
	v_and_or_b32 v100, v90, 15, 0x4b000000
	v_lshrrev_b32_e32 v101, 4, v90
	v_lshrrev_b32_e32 v102, 8, v90
	;; [unrolled: 1-line block ×3, first 2 shown]
	s_delay_alu instid0(VALU_DEP_4) | instskip(NEXT) | instid1(VALU_DEP_4)
	v_add_f32_e32 v100, 0xcb000008, v100
	v_and_or_b32 v101, v101, 15, 0x4b000000
	s_delay_alu instid0(VALU_DEP_4) | instskip(NEXT) | instid1(VALU_DEP_4)
	v_and_or_b32 v102, v102, 15, 0x4b000000
	v_and_or_b32 v90, v90, 15, 0x4b000000
	s_delay_alu instid0(VALU_DEP_2) | instskip(NEXT) | instid1(VALU_DEP_2)
	v_dual_add_f32 v101, 0xcb000008, v101 :: v_dual_add_f32 v102, 0xcb000008, v102
	v_add_f32_e32 v90, 0xcb000008, v90
	s_delay_alu instid0(VALU_DEP_2) | instskip(NEXT) | instid1(VALU_DEP_2)
	v_lshrrev_b32_e32 v101, 16, v101
	v_lshrrev_b32_e32 v90, 16, v90
	s_delay_alu instid0(VALU_DEP_2) | instskip(NEXT) | instid1(VALU_DEP_2)
	v_and_or_b32 v100, 0xffff0000, v100, v101
	v_and_or_b32 v101, 0xffff0000, v102, v90
	; sched_barrier mask(0x00000000)
	s_barrier_signal -1
	s_barrier_wait -1
	; sched_barrier mask(0x00000000)
	v_wmma_f32_16x16x16_bf16 v[1:8], v[73:76], v[69:72], v[1:8]
	s_delay_alu instid0(VALU_DEP_1) | instskip(NEXT) | instid1(VALU_DEP_1)
	v_wmma_f32_16x16x16_bf16 v[1:8], v[77:80], v[65:68], v[1:8]
	v_wmma_f32_16x16x16_bf16 v[1:8], v[81:84], v[61:64], v[1:8]
	s_delay_alu instid0(VALU_DEP_1)
	v_wmma_f32_16x16x16_bf16 v[1:8], v[85:88], v[57:60], v[1:8]
	; sched_barrier mask(0x00000000)
	s_setprio 1
	; sched_barrier mask(0x00000000)
	; sched_barrier mask(0x00000000)
	s_wait_dscnt 0x0
	s_barrier_signal -1
	s_barrier_wait -1
	; sched_barrier mask(0x00000000)
	v_wmma_f32_16x16x16_bf16 v[1:8], v[131:134], v[21:24], v[1:8]
	s_delay_alu instid0(VALU_DEP_1) | instskip(NEXT) | instid1(VALU_DEP_1)
	v_wmma_f32_16x16x16_bf16 v[1:8], v[135:138], v[17:20], v[1:8]
	v_wmma_f32_16x16x16_bf16 v[1:8], v[139:142], v[13:16], v[1:8]
	s_delay_alu instid0(VALU_DEP_1)
	v_wmma_f32_16x16x16_bf16 v[1:8], v[98:101], v[9:12], v[1:8]
	; sched_barrier mask(0x00000000)
	s_setprio 0
	; sched_barrier mask(0x00000000)
	v_add_nc_u32_e32 v9, 0x80, v89
	v_lshrrev_b32_e32 v10, 31, v89
	v_add_nc_u32_e64 v57, 6, s7
	v_add_nc_u32_e32 v107, 12, v107
	v_add_nc_u32_e32 v60, v95, v93
	v_lshrrev_b32_e32 v11, 31, v9
	v_add_nc_u32_e32 v10, v89, v10
	v_sub_nc_u32_e32 v57, v57, v97
	v_add3_u32 v59, v96, v94, v127
	v_add_nc_u32_e32 v108, v108, v114
	v_add_nc_u32_e32 v9, v9, v11
	v_ashrrev_i32_e32 v10, 1, v10
	v_mad_co_u64_u32 v[57:58], null, v57, s12, v[89:90]
	v_add_nc_u32_e32 v126, 0x300, v126
	s_delay_alu instid0(VALU_DEP_4)
	v_ashrrev_i32_e32 v13, 1, v9
	v_add_nc_u32_e32 v122, 0x300, v122
	s_clause 0x1
	buffer_load_b128 v[21:24], v129, s[0:3], null offen offset:1280
	buffer_load_b128 v[17:20], v130, s[0:3], null offen
	s_clause 0x1
	buffer_load_b128 v[9:12], v10, s[8:11], null offen
	buffer_load_b128 v[13:16], v13, s[8:11], null offen
	v_lshrrev_b32_e32 v58, 2, v107
	s_add_co_i32 s7, s7, 3
	v_add_nc_u32_e32 v61, v60, v91
	s_wait_alu 0xfffe
	s_cmp_lt_i32 s7, s14
	s_wait_loadcnt 0x8
	ds_store_b128 v60, v[25:28]
	ds_store_b128 v61, v[29:32]
	ds_store_b128 v92, v[33:36] offset:4096
	ds_store_b128 v128, v[37:40] offset:4096
	s_cbranch_scc1 .LBB8_12
; %bb.13:
	s_wait_dscnt 0x0
	s_barrier_signal -1
	s_barrier_wait -1
	s_wait_loadcnt 0x2
	ds_load_b128 v[17:20], v124 offset:4096
	ds_load_b128 v[21:24], v110
	ds_load_b128 v[25:28], v115
	;; [unrolled: 1-line block ×6, first 2 shown]
	s_wait_loadcnt 0x0
	ds_load_b128 v[13:16], v120
	ds_load_b128 v[9:12], v121
	ds_load_b128 v[45:48], v106 offset:4096
	s_lshl_b64 s[0:1], s[20:21], 1
	s_mov_b32 s3, 0
	s_mov_b32 s2, s13
	s_add_nc_u64 s[8:9], s[16:17], s[0:1]
	s_mul_u64 s[2:3], s[18:19], s[2:3]
	s_wait_dscnt 0x9
	v_and_or_b32 v49, v17, 15, 0x4b000000
	v_lshrrev_b32_e32 v50, 4, v17
	v_lshrrev_b32_e32 v51, 8, v17
	;; [unrolled: 1-line block ×3, first 2 shown]
	v_ashrrev_i32_e32 v17, 16, v17
	v_lshrrev_b32_e32 v53, 4, v18
	v_and_or_b32 v50, v50, 15, 0x4b000000
	v_and_or_b32 v51, v51, 15, 0x4b000000
	v_and_or_b32 v52, v52, 15, 0x4b000000
	v_lshrrev_b32_e32 v54, 4, v17
	s_delay_alu instid0(VALU_DEP_4) | instskip(SKIP_1) | instid1(VALU_DEP_4)
	v_dual_add_f32 v49, 0xcb000008, v49 :: v_dual_add_f32 v50, 0xcb000008, v50
	v_and_or_b32 v55, v17, 15, 0x4b000000
	v_dual_add_f32 v51, 0xcb000008, v51 :: v_dual_add_f32 v52, 0xcb000008, v52
	s_delay_alu instid0(VALU_DEP_4) | instskip(NEXT) | instid1(VALU_DEP_4)
	v_and_or_b32 v54, v54, 15, 0x4b000000
	v_lshrrev_b32_e32 v50, 16, v50
	s_delay_alu instid0(VALU_DEP_4)
	v_add_f32_e32 v55, 0xcb000008, v55
	v_lshrrev_b32_e32 v56, 8, v17
	v_lshrrev_b32_e32 v52, 16, v52
	v_add_f32_e32 v54, 0xcb000008, v54
	v_and_or_b32 v49, 0xffff0000, v49, v50
	v_lshrrev_b32_e32 v17, 12, v17
	v_and_or_b32 v53, v53, 15, 0x4b000000
	v_and_or_b32 v50, 0xffff0000, v51, v52
	v_lshrrev_b32_e32 v54, 16, v54
	v_lshrrev_b32_e32 v52, 8, v18
	v_and_or_b32 v17, v17, 15, 0x4b000000
	v_and_or_b32 v56, v56, 15, 0x4b000000
	s_wait_dscnt 0x0
	v_and_or_b32 v65, v45, 15, 0x4b000000
	v_and_or_b32 v51, 0xffff0000, v55, v54
	v_lshrrev_b32_e32 v54, 12, v18
	v_and_or_b32 v55, v18, 15, 0x4b000000
	v_ashrrev_i32_e32 v18, 16, v18
	v_and_or_b32 v52, v52, 15, 0x4b000000
	v_dual_add_f32 v17, 0xcb000008, v17 :: v_dual_add_f32 v56, 0xcb000008, v56
	v_and_or_b32 v54, v54, 15, 0x4b000000
	s_delay_alu instid0(VALU_DEP_4)
	v_lshrrev_b32_e32 v58, 12, v18
	v_add_f32_e32 v55, 0xcb000008, v55
	v_add_f32_e32 v59, 0xcb000008, v52
	v_lshrrev_b32_e32 v57, 4, v18
	v_add_f32_e32 v52, 0xcb000008, v54
	v_lshrrev_b32_e32 v54, 8, v18
	v_and_or_b32 v58, v58, 15, 0x4b000000
	v_add_f32_e32 v53, 0xcb000008, v53
	v_lshrrev_b32_e32 v17, 16, v17
	v_and_or_b32 v57, v57, 15, 0x4b000000
	v_and_or_b32 v54, v54, 15, 0x4b000000
	v_add_f32_e32 v58, 0xcb000008, v58
	v_and_or_b32 v18, v18, 15, 0x4b000000
	v_lshrrev_b32_e32 v60, 16, v52
	v_and_or_b32 v52, 0xffff0000, v56, v17
	v_add_f32_e32 v61, 0xcb000008, v54
	v_lshrrev_b32_e32 v58, 16, v58
	v_lshrrev_b32_e32 v53, 16, v53
	v_add_f32_e32 v18, 0xcb000008, v18
	v_lshrrev_b32_e32 v17, 4, v19
	v_and_or_b32 v54, 0xffff0000, v59, v60
	v_and_or_b32 v56, 0xffff0000, v61, v58
	;; [unrolled: 1-line block ×3, first 2 shown]
	v_add_f32_e32 v57, 0xcb000008, v57
	v_and_or_b32 v53, 0xffff0000, v55, v53
	v_and_or_b32 v17, v17, 15, 0x4b000000
	s_delay_alu instid0(VALU_DEP_4) | instskip(NEXT) | instid1(VALU_DEP_4)
	v_dual_add_f32 v65, 0xcb000008, v65 :: v_dual_add_f32 v58, 0xcb000008, v58
	v_lshrrev_b32_e32 v57, 16, v57
	v_and_or_b32 v74, v48, 15, 0x4b000000
	s_delay_alu instid0(VALU_DEP_2) | instskip(SKIP_4) | instid1(VALU_DEP_4)
	v_and_or_b32 v55, 0xffff0000, v18, v57
	v_lshrrev_b32_e32 v18, 8, v19
	v_lshrrev_b32_e32 v57, 12, v19
	v_ashrrev_i32_e32 v19, 16, v19
	v_add_f32_e32 v74, 0xcb000008, v74
	v_and_or_b32 v18, v18, 15, 0x4b000000
	s_delay_alu instid0(VALU_DEP_4) | instskip(NEXT) | instid1(VALU_DEP_4)
	v_and_or_b32 v57, v57, 15, 0x4b000000
	v_lshrrev_b32_e32 v60, 12, v19
	v_lshrrev_b32_e32 v61, 8, v19
	s_delay_alu instid0(VALU_DEP_4) | instskip(NEXT) | instid1(VALU_DEP_4)
	v_dual_add_f32 v17, 0xcb000008, v17 :: v_dual_add_f32 v18, 0xcb000008, v18
	v_add_f32_e32 v57, 0xcb000008, v57
	s_delay_alu instid0(VALU_DEP_4) | instskip(NEXT) | instid1(VALU_DEP_4)
	v_and_or_b32 v60, v60, 15, 0x4b000000
	v_and_or_b32 v61, v61, 15, 0x4b000000
	v_lshrrev_b32_e32 v59, 4, v19
	v_lshrrev_b32_e32 v17, 16, v17
	;; [unrolled: 1-line block ×3, first 2 shown]
	s_delay_alu instid0(VALU_DEP_4) | instskip(NEXT) | instid1(VALU_DEP_4)
	v_dual_add_f32 v60, 0xcb000008, v60 :: v_dual_add_f32 v61, 0xcb000008, v61
	v_and_or_b32 v59, v59, 15, 0x4b000000
	s_delay_alu instid0(VALU_DEP_4) | instskip(NEXT) | instid1(VALU_DEP_4)
	v_and_or_b32 v57, 0xffff0000, v58, v17
	v_and_or_b32 v58, 0xffff0000, v18, v62
	s_delay_alu instid0(VALU_DEP_4) | instskip(SKIP_3) | instid1(VALU_DEP_4)
	v_lshrrev_b32_e32 v60, 16, v60
	v_lshrrev_b32_e32 v18, 8, v20
	v_and_or_b32 v19, v19, 15, 0x4b000000
	v_lshrrev_b32_e32 v17, 4, v20
	v_and_or_b32 v60, 0xffff0000, v61, v60
	v_ashrrev_i32_e32 v61, 16, v20
	v_and_or_b32 v18, v18, 15, 0x4b000000
	v_add_f32_e32 v59, 0xcb000008, v59
	v_and_or_b32 v17, v17, 15, 0x4b000000
	s_delay_alu instid0(VALU_DEP_4) | instskip(NEXT) | instid1(VALU_DEP_4)
	v_lshrrev_b32_e32 v62, 4, v61
	v_add_f32_e32 v18, 0xcb000008, v18
	s_delay_alu instid0(VALU_DEP_4)
	v_lshrrev_b32_e32 v59, 16, v59
	v_lshrrev_b32_e32 v63, 12, v61
	;; [unrolled: 1-line block ×3, first 2 shown]
	v_and_or_b32 v62, v62, 15, 0x4b000000
	v_add_f32_e32 v19, 0xcb000008, v19
	v_and_or_b32 v61, v61, 15, 0x4b000000
	v_and_or_b32 v63, v63, 15, 0x4b000000
	;; [unrolled: 1-line block ×3, first 2 shown]
	v_add_f32_e32 v62, 0xcb000008, v62
	v_and_or_b32 v59, 0xffff0000, v19, v59
	v_lshrrev_b32_e32 v19, 12, v20
	v_add_f32_e32 v61, 0xcb000008, v61
	v_and_or_b32 v20, v20, 15, 0x4b000000
	v_lshrrev_b32_e32 v62, 16, v62
	s_delay_alu instid0(VALU_DEP_4) | instskip(NEXT) | instid1(VALU_DEP_1)
	v_and_or_b32 v19, v19, 15, 0x4b000000
	v_dual_add_f32 v20, 0xcb000008, v20 :: v_dual_add_f32 v19, 0xcb000008, v19
	s_delay_alu instid0(VALU_DEP_1) | instskip(NEXT) | instid1(VALU_DEP_1)
	v_lshrrev_b32_e32 v19, 16, v19
	v_and_or_b32 v18, 0xffff0000, v18, v19
	v_and_or_b32 v19, 0xffff0000, v61, v62
	v_lshrrev_b32_e32 v61, 4, v45
	v_lshrrev_b32_e32 v62, 8, v45
	s_delay_alu instid0(VALU_DEP_2) | instskip(NEXT) | instid1(VALU_DEP_2)
	v_and_or_b32 v61, v61, 15, 0x4b000000
	v_and_or_b32 v62, v62, 15, 0x4b000000
	v_add_f32_e32 v17, 0xcb000008, v17
	s_delay_alu instid0(VALU_DEP_2) | instskip(NEXT) | instid1(VALU_DEP_2)
	v_dual_add_f32 v61, 0xcb000008, v61 :: v_dual_add_f32 v62, 0xcb000008, v62
	v_lshrrev_b32_e32 v17, 16, v17
	s_delay_alu instid0(VALU_DEP_2) | instskip(NEXT) | instid1(VALU_DEP_2)
	v_lshrrev_b32_e32 v61, 16, v61
	v_and_or_b32 v17, 0xffff0000, v20, v17
	v_add_f32_e32 v20, 0xcb000008, v63
	s_delay_alu instid0(VALU_DEP_3) | instskip(SKIP_1) | instid1(VALU_DEP_3)
	v_and_or_b32 v61, 0xffff0000, v65, v61
	v_lshrrev_b32_e32 v65, 8, v46
	v_lshrrev_b32_e32 v20, 16, v20
	s_delay_alu instid0(VALU_DEP_2) | instskip(SKIP_3) | instid1(VALU_DEP_4)
	v_and_or_b32 v65, v65, 15, 0x4b000000
	v_add_f32_e32 v63, 0xcb000008, v64
	v_lshrrev_b32_e32 v64, 12, v45
	v_ashrrev_i32_e32 v45, 16, v45
	v_add_f32_e32 v70, 0xcb000008, v65
	s_delay_alu instid0(VALU_DEP_4) | instskip(NEXT) | instid1(VALU_DEP_4)
	v_and_or_b32 v20, 0xffff0000, v63, v20
	v_and_or_b32 v64, v64, 15, 0x4b000000
	s_delay_alu instid0(VALU_DEP_4)
	v_lshrrev_b32_e32 v66, 4, v45
	v_lshrrev_b32_e32 v67, 12, v45
	v_lshrrev_b32_e32 v68, 8, v45
	v_and_or_b32 v45, v45, 15, 0x4b000000
	v_add_f32_e32 v64, 0xcb000008, v64
	v_and_or_b32 v66, v66, 15, 0x4b000000
	v_and_or_b32 v67, v67, 15, 0x4b000000
	;; [unrolled: 1-line block ×3, first 2 shown]
	v_add_f32_e32 v45, 0xcb000008, v45
	v_lshrrev_b32_e32 v64, 16, v64
	s_delay_alu instid0(VALU_DEP_4) | instskip(NEXT) | instid1(VALU_DEP_4)
	v_dual_add_f32 v66, 0xcb000008, v66 :: v_dual_add_f32 v67, 0xcb000008, v67
	v_add_f32_e32 v68, 0xcb000008, v68
	s_delay_alu instid0(VALU_DEP_3) | instskip(NEXT) | instid1(VALU_DEP_3)
	v_and_or_b32 v62, 0xffff0000, v62, v64
	v_lshrrev_b32_e32 v66, 16, v66
	s_delay_alu instid0(VALU_DEP_4) | instskip(NEXT) | instid1(VALU_DEP_2)
	v_lshrrev_b32_e32 v67, 16, v67
	v_and_or_b32 v63, 0xffff0000, v45, v66
	s_delay_alu instid0(VALU_DEP_2) | instskip(SKIP_4) | instid1(VALU_DEP_4)
	v_and_or_b32 v64, 0xffff0000, v68, v67
	v_lshrrev_b32_e32 v45, 4, v46
	v_lshrrev_b32_e32 v66, 12, v46
	v_and_or_b32 v67, v46, 15, 0x4b000000
	v_ashrrev_i32_e32 v46, 16, v46
	v_and_or_b32 v45, v45, 15, 0x4b000000
	s_delay_alu instid0(VALU_DEP_4) | instskip(NEXT) | instid1(VALU_DEP_4)
	v_and_or_b32 v66, v66, 15, 0x4b000000
	v_add_f32_e32 v67, 0xcb000008, v67
	s_delay_alu instid0(VALU_DEP_4) | instskip(SKIP_3) | instid1(VALU_DEP_4)
	v_lshrrev_b32_e32 v68, 4, v46
	v_lshrrev_b32_e32 v69, 12, v46
	v_add_f32_e32 v45, 0xcb000008, v45
	v_add_f32_e32 v65, 0xcb000008, v66
	v_and_or_b32 v66, v68, 15, 0x4b000000
	v_lshrrev_b32_e32 v68, 8, v46
	v_and_or_b32 v69, v69, 15, 0x4b000000
	s_delay_alu instid0(VALU_DEP_4)
	v_lshrrev_b32_e32 v71, 16, v65
	v_lshrrev_b32_e32 v45, 16, v45
	v_add_f32_e32 v66, 0xcb000008, v66
	v_and_or_b32 v68, v68, 15, 0x4b000000
	v_add_f32_e32 v69, 0xcb000008, v69
	v_and_or_b32 v46, v46, 15, 0x4b000000
	v_and_or_b32 v65, 0xffff0000, v67, v45
	v_lshrrev_b32_e32 v72, 16, v66
	v_add_f32_e32 v68, 0xcb000008, v68
	v_lshrrev_b32_e32 v69, 16, v69
	v_and_or_b32 v66, 0xffff0000, v70, v71
	v_ashrrev_i32_e32 v70, 16, v47
	v_add_f32_e32 v46, 0xcb000008, v46
	v_lshrrev_b32_e32 v45, 4, v47
	v_and_or_b32 v68, 0xffff0000, v68, v69
	v_lshrrev_b32_e32 v69, 12, v47
	v_lshrrev_b32_e32 v71, 4, v70
	v_and_or_b32 v67, 0xffff0000, v46, v72
	v_lshrrev_b32_e32 v46, 8, v47
	v_and_or_b32 v45, v45, 15, 0x4b000000
	v_and_or_b32 v69, v69, 15, 0x4b000000
	;; [unrolled: 1-line block ×3, first 2 shown]
	v_lshrrev_b32_e32 v72, 12, v70
	v_and_or_b32 v47, v47, 15, 0x4b000000
	v_and_or_b32 v46, v46, 15, 0x4b000000
	v_add_f32_e32 v45, 0xcb000008, v45
	v_add_f32_e32 v69, 0xcb000008, v69
	v_lshrrev_b32_e32 v73, 8, v70
	v_and_or_b32 v70, v70, 15, 0x4b000000
	v_add_f32_e32 v71, 0xcb000008, v71
	v_and_or_b32 v72, v72, 15, 0x4b000000
	v_dual_add_f32 v47, 0xcb000008, v47 :: v_dual_add_f32 v46, 0xcb000008, v46
	v_lshrrev_b32_e32 v45, 16, v45
	v_lshrrev_b32_e32 v69, 16, v69
	v_and_or_b32 v73, v73, 15, 0x4b000000
	v_add_f32_e32 v70, 0xcb000008, v70
	v_lshrrev_b32_e32 v71, 16, v71
	v_add_f32_e32 v72, 0xcb000008, v72
	v_and_or_b32 v45, 0xffff0000, v47, v45
	v_and_or_b32 v46, 0xffff0000, v46, v69
	v_add_f32_e32 v69, 0xcb000008, v73
	v_and_or_b32 v47, 0xffff0000, v70, v71
	v_lshrrev_b32_e32 v70, 4, v48
	v_lshrrev_b32_e32 v71, 16, v72
	;; [unrolled: 1-line block ×4, first 2 shown]
	v_ashrrev_i32_e32 v48, 16, v48
	v_and_or_b32 v70, v70, 15, 0x4b000000
	s_delay_alu instid0(VALU_DEP_4) | instskip(NEXT) | instid1(VALU_DEP_4)
	v_and_or_b32 v72, v72, 15, 0x4b000000
	v_and_or_b32 v73, v73, 15, 0x4b000000
	s_delay_alu instid0(VALU_DEP_4) | instskip(SKIP_2) | instid1(VALU_DEP_4)
	v_lshrrev_b32_e32 v75, 4, v48
	v_lshrrev_b32_e32 v76, 12, v48
	;; [unrolled: 1-line block ×3, first 2 shown]
	v_dual_add_f32 v70, 0xcb000008, v70 :: v_dual_add_f32 v73, 0xcb000008, v73
	s_delay_alu instid0(VALU_DEP_4) | instskip(NEXT) | instid1(VALU_DEP_4)
	v_and_or_b32 v75, v75, 15, 0x4b000000
	v_and_or_b32 v76, v76, 15, 0x4b000000
	;; [unrolled: 1-line block ×4, first 2 shown]
	s_delay_alu instid0(VALU_DEP_4) | instskip(NEXT) | instid1(VALU_DEP_4)
	v_dual_add_f32 v72, 0xcb000008, v72 :: v_dual_add_f32 v75, 0xcb000008, v75
	v_add_f32_e32 v76, 0xcb000008, v76
	v_lshrrev_b32_e32 v70, 16, v70
	v_lshrrev_b32_e32 v73, 16, v73
	v_dual_add_f32 v78, 0xcb000008, v48 :: v_dual_add_f32 v77, 0xcb000008, v77
	v_lshrrev_b32_e32 v75, 16, v75
	v_lshrrev_b32_e32 v76, 16, v76
	v_and_or_b32 v48, 0xffff0000, v69, v71
	v_and_or_b32 v69, 0xffff0000, v74, v70
	;; [unrolled: 1-line block ×5, first 2 shown]
	; sched_barrier mask(0x00000000)
	s_barrier_signal -1
	s_barrier_wait -1
	; sched_barrier mask(0x00000000)
	v_wmma_f32_16x16x16_bf16 v[1:8], v[49:52], v[21:24], v[1:8]
	s_delay_alu instid0(VALU_DEP_1) | instskip(NEXT) | instid1(VALU_DEP_1)
	v_wmma_f32_16x16x16_bf16 v[1:8], v[53:56], v[25:28], v[1:8]
	v_wmma_f32_16x16x16_bf16 v[1:8], v[57:60], v[29:32], v[1:8]
	s_delay_alu instid0(VALU_DEP_1)
	v_wmma_f32_16x16x16_bf16 v[1:8], v[17:20], v[33:36], v[1:8]
	; sched_barrier mask(0x00000000)
	s_setprio 1
	; sched_barrier mask(0x00000000)
	; sched_barrier mask(0x00000000)
	s_wait_dscnt 0x0
	s_barrier_signal -1
	s_barrier_wait -1
	; sched_barrier mask(0x00000000)
	v_wmma_f32_16x16x16_bf16 v[1:8], v[61:64], v[37:40], v[1:8]
	s_delay_alu instid0(VALU_DEP_1) | instskip(NEXT) | instid1(VALU_DEP_1)
	v_wmma_f32_16x16x16_bf16 v[1:8], v[65:68], v[41:44], v[1:8]
	v_wmma_f32_16x16x16_bf16 v[1:8], v[45:48], v[13:16], v[1:8]
	s_delay_alu instid0(VALU_DEP_1) | instskip(SKIP_1) | instid1(VALU_DEP_1)
	v_wmma_f32_16x16x16_bf16 v[1:8], v[69:72], v[9:12], v[1:8]
	; sched_barrier mask(0x00000000)
	s_setprio 0
	; sched_barrier mask(0x00000000)
	v_bfe_u32 v12, v1, 16, 1
	s_delay_alu instid0(VALU_DEP_2)
	v_bfe_u32 v20, v7, 16, 1
	v_or_b32_e32 v13, 0x400000, v1
	v_bfe_u32 v17, v3, 16, 1
	v_cmp_u_f32_e32 vcc_lo, v1, v1
	v_add3_u32 v12, v12, v1, 0x7fff
	v_lshlrev_b32_e32 v9, 3, v0
	v_add3_u32 v20, v20, v7, 0x7fff
	v_or_b32_e32 v21, 0x400000, v7
	v_lshlrev_b32_e32 v0, 7, v0
	v_bfe_u32 v16, v2, 16, 1
	v_cndmask_b32_e32 v12, v12, v13, vcc_lo
	v_add3_u32 v1, v17, v3, 0x7fff
	v_or_b32_e32 v13, 0x400000, v3
	v_and_b32_e32 v0, 0x780, v0
	v_cmp_u_f32_e32 vcc_lo, v3, v3
	v_and_b32_e32 v10, 56, v104
	v_bfe_u32 v17, v5, 16, 1
	v_bfe_u32 v19, v6, 16, 1
	v_or_b32_e32 v22, 0x400000, v8
	s_wait_alu 0xfffd
	v_cndmask_b32_e32 v1, v1, v13, vcc_lo
	v_lshl_or_b32 v10, v10, 1, v0
	v_add3_u32 v0, v16, v2, 0x7fff
	v_bfe_u32 v16, v4, 16, 1
	v_add3_u32 v13, v17, v5, 0x7fff
	v_cmp_u_f32_e32 vcc_lo, v5, v5
	v_or_b32_e32 v17, 0x400000, v4
	v_or_b32_e32 v18, 0x400000, v2
	v_add3_u32 v3, v16, v4, 0x7fff
	v_or_b32_e32 v16, 0x400000, v5
	v_lshl_or_b32 v11, s15, 4, v103
	s_wait_dscnt 0x0
	s_barrier_signal -1
	s_barrier_wait -1
	s_wait_alu 0xfffd
	v_cndmask_b32_e32 v5, v13, v16, vcc_lo
	v_add3_u32 v16, v19, v6, 0x7fff
	v_or_b32_e32 v19, 0x400000, v6
	v_cmp_u_f32_e32 vcc_lo, v6, v6
	v_and_b32_e32 v9, 56, v9
	v_bfe_u32 v13, v8, 16, 1
	v_mul_lo_u32 v14, v11, s13
	v_cmp_gt_i32_e64 s0, s4, v11
	s_wait_alu 0xfffd
	v_cndmask_b32_e32 v6, v16, v19, vcc_lo
	v_cmp_u_f32_e32 vcc_lo, v7, v7
	v_add3_u32 v13, v13, v8, 0x7fff
	v_or_b32_e32 v15, s6, v9
	s_and_b32 s9, s9, 0xffff
	s_mov_b32 s11, 0x31004000
	s_wait_alu 0xfffd
	v_cndmask_b32_e32 v7, v20, v21, vcc_lo
	v_cmp_u_f32_e32 vcc_lo, v8, v8
	s_wait_alu 0xfffd
	v_cndmask_b32_e32 v8, v13, v22, vcc_lo
	v_cmp_u_f32_e32 vcc_lo, v4, v4
	;; [unrolled: 3-line block ×3, first 2 shown]
	v_perm_b32 v3, v8, v7, 0x7060302
	v_perm_b32 v2, v6, v5, 0x7060302
	s_delay_alu instid0(VALU_DEP_4) | instskip(SKIP_4) | instid1(VALU_DEP_3)
	v_perm_b32 v1, v4, v1, 0x7060302
	s_wait_alu 0xfffd
	v_cndmask_b32_e32 v0, v0, v18, vcc_lo
	v_lshlrev_b32_e32 v4, 1, v9
	v_cmp_gt_i32_e32 vcc_lo, s5, v15
	v_perm_b32 v0, v0, v12, 0x7060302
	s_delay_alu instid0(VALU_DEP_3) | instskip(SKIP_1) | instid1(SALU_CYCLE_1)
	v_lshl_or_b32 v4, v103, 7, v4
	s_and_b32 s2, s0, vcc_lo
	v_cndmask_b32_e64 v5, 0x80000000, 0, s2
	ds_store_b128 v10, v[0:3]
	s_wait_dscnt 0x0
	s_barrier_signal -1
	s_barrier_wait -1
	ds_load_b128 v[0:3], v4
	v_or_b32_e32 v4, 4, v15
	s_delay_alu instid0(VALU_DEP_1) | instskip(SKIP_2) | instid1(VALU_DEP_1)
	v_cmp_gt_i32_e64 s1, s5, v4
	v_add_lshl_u32 v4, v14, v15, 1
	s_and_b32 s0, s0, s1
	v_add_nc_u32_e32 v5, v5, v4
	v_cndmask_b32_e64 v6, 0x80000000, 0, s0
	s_add_co_i32 s0, s5, s3
	s_wait_alu 0xfffe
	s_lshl_b32 s10, s0, 1
	s_delay_alu instid0(VALU_DEP_1)
	v_add_nc_u32_e32 v4, v4, v6
	s_wait_dscnt 0x0
	s_clause 0x1
	buffer_store_b64 v[0:1], v5, s[8:11], null offen
	buffer_store_b64 v[2:3], v4, s[8:11], null offen offset:8
	s_nop 0
	s_sendmsg sendmsg(MSG_DEALLOC_VGPRS)
	s_endpgm
	.section	.rodata,"a",@progbits
	.p2align	6, 0x0
	.amdhsa_kernel _ZN2ck27kernel_gemm_xdl_cshuffle_v3INS_28GridwiseGemm_xdl_cshuffle_v3INS_13tensor_layout4gemm8RowMajorENS3_11ColumnMajorES4_DF16bNS_7pk_i4_tEfDF16bDF16bNS_16tensor_operation12element_wise11PassThroughES9_S9_LNS7_6device18GemmSpecializationE0ELi128ELi16ELi64ELi128ELi8ELi32ELi16ELi16ELi1ELi1ENS_8SequenceIJLi16ELi8ELi1EEEENSC_IJLi1ELi0ELi2EEEESE_Li2ELi8ELi8ELb0ELi0ENSC_IJLi4ELi32ELi1EEEESE_SE_Li2ELi32ELi32ELb0ELi0ELi1ELi1ENSC_IJLi1ELi16ELi1ELi8EEEELi4ELNS_26BlockGemmPipelineSchedulerE1ELNS_24BlockGemmPipelineVersionE1EDF16bDF16bLb0ELb1ELb0ELi0ELb0EEELb1ELNS_25InMemoryDataOperationEnumE0ELi2ELNS_10TailNumberE2EEEvNT_8ArgumentE
		.amdhsa_group_segment_fixed_size 8192
		.amdhsa_private_segment_fixed_size 0
		.amdhsa_kernarg_size 112
		.amdhsa_user_sgpr_count 2
		.amdhsa_user_sgpr_dispatch_ptr 0
		.amdhsa_user_sgpr_queue_ptr 0
		.amdhsa_user_sgpr_kernarg_segment_ptr 1
		.amdhsa_user_sgpr_dispatch_id 0
		.amdhsa_user_sgpr_private_segment_size 0
		.amdhsa_wavefront_size32 1
		.amdhsa_uses_dynamic_stack 0
		.amdhsa_enable_private_segment 0
		.amdhsa_system_sgpr_workgroup_id_x 1
		.amdhsa_system_sgpr_workgroup_id_y 0
		.amdhsa_system_sgpr_workgroup_id_z 1
		.amdhsa_system_sgpr_workgroup_info 0
		.amdhsa_system_vgpr_workitem_id 0
		.amdhsa_next_free_vgpr 143
		.amdhsa_next_free_sgpr 30
		.amdhsa_reserve_vcc 1
		.amdhsa_float_round_mode_32 0
		.amdhsa_float_round_mode_16_64 0
		.amdhsa_float_denorm_mode_32 3
		.amdhsa_float_denorm_mode_16_64 3
		.amdhsa_fp16_overflow 0
		.amdhsa_workgroup_processor_mode 1
		.amdhsa_memory_ordered 1
		.amdhsa_forward_progress 1
		.amdhsa_inst_pref_size 100
		.amdhsa_round_robin_scheduling 0
		.amdhsa_exception_fp_ieee_invalid_op 0
		.amdhsa_exception_fp_denorm_src 0
		.amdhsa_exception_fp_ieee_div_zero 0
		.amdhsa_exception_fp_ieee_overflow 0
		.amdhsa_exception_fp_ieee_underflow 0
		.amdhsa_exception_fp_ieee_inexact 0
		.amdhsa_exception_int_div_zero 0
	.end_amdhsa_kernel
	.section	.text._ZN2ck27kernel_gemm_xdl_cshuffle_v3INS_28GridwiseGemm_xdl_cshuffle_v3INS_13tensor_layout4gemm8RowMajorENS3_11ColumnMajorES4_DF16bNS_7pk_i4_tEfDF16bDF16bNS_16tensor_operation12element_wise11PassThroughES9_S9_LNS7_6device18GemmSpecializationE0ELi128ELi16ELi64ELi128ELi8ELi32ELi16ELi16ELi1ELi1ENS_8SequenceIJLi16ELi8ELi1EEEENSC_IJLi1ELi0ELi2EEEESE_Li2ELi8ELi8ELb0ELi0ENSC_IJLi4ELi32ELi1EEEESE_SE_Li2ELi32ELi32ELb0ELi0ELi1ELi1ENSC_IJLi1ELi16ELi1ELi8EEEELi4ELNS_26BlockGemmPipelineSchedulerE1ELNS_24BlockGemmPipelineVersionE1EDF16bDF16bLb0ELb1ELb0ELi0ELb0EEELb1ELNS_25InMemoryDataOperationEnumE0ELi2ELNS_10TailNumberE2EEEvNT_8ArgumentE,"axG",@progbits,_ZN2ck27kernel_gemm_xdl_cshuffle_v3INS_28GridwiseGemm_xdl_cshuffle_v3INS_13tensor_layout4gemm8RowMajorENS3_11ColumnMajorES4_DF16bNS_7pk_i4_tEfDF16bDF16bNS_16tensor_operation12element_wise11PassThroughES9_S9_LNS7_6device18GemmSpecializationE0ELi128ELi16ELi64ELi128ELi8ELi32ELi16ELi16ELi1ELi1ENS_8SequenceIJLi16ELi8ELi1EEEENSC_IJLi1ELi0ELi2EEEESE_Li2ELi8ELi8ELb0ELi0ENSC_IJLi4ELi32ELi1EEEESE_SE_Li2ELi32ELi32ELb0ELi0ELi1ELi1ENSC_IJLi1ELi16ELi1ELi8EEEELi4ELNS_26BlockGemmPipelineSchedulerE1ELNS_24BlockGemmPipelineVersionE1EDF16bDF16bLb0ELb1ELb0ELi0ELb0EEELb1ELNS_25InMemoryDataOperationEnumE0ELi2ELNS_10TailNumberE2EEEvNT_8ArgumentE,comdat
.Lfunc_end8:
	.size	_ZN2ck27kernel_gemm_xdl_cshuffle_v3INS_28GridwiseGemm_xdl_cshuffle_v3INS_13tensor_layout4gemm8RowMajorENS3_11ColumnMajorES4_DF16bNS_7pk_i4_tEfDF16bDF16bNS_16tensor_operation12element_wise11PassThroughES9_S9_LNS7_6device18GemmSpecializationE0ELi128ELi16ELi64ELi128ELi8ELi32ELi16ELi16ELi1ELi1ENS_8SequenceIJLi16ELi8ELi1EEEENSC_IJLi1ELi0ELi2EEEESE_Li2ELi8ELi8ELb0ELi0ENSC_IJLi4ELi32ELi1EEEESE_SE_Li2ELi32ELi32ELb0ELi0ELi1ELi1ENSC_IJLi1ELi16ELi1ELi8EEEELi4ELNS_26BlockGemmPipelineSchedulerE1ELNS_24BlockGemmPipelineVersionE1EDF16bDF16bLb0ELb1ELb0ELi0ELb0EEELb1ELNS_25InMemoryDataOperationEnumE0ELi2ELNS_10TailNumberE2EEEvNT_8ArgumentE, .Lfunc_end8-_ZN2ck27kernel_gemm_xdl_cshuffle_v3INS_28GridwiseGemm_xdl_cshuffle_v3INS_13tensor_layout4gemm8RowMajorENS3_11ColumnMajorES4_DF16bNS_7pk_i4_tEfDF16bDF16bNS_16tensor_operation12element_wise11PassThroughES9_S9_LNS7_6device18GemmSpecializationE0ELi128ELi16ELi64ELi128ELi8ELi32ELi16ELi16ELi1ELi1ENS_8SequenceIJLi16ELi8ELi1EEEENSC_IJLi1ELi0ELi2EEEESE_Li2ELi8ELi8ELb0ELi0ENSC_IJLi4ELi32ELi1EEEESE_SE_Li2ELi32ELi32ELb0ELi0ELi1ELi1ENSC_IJLi1ELi16ELi1ELi8EEEELi4ELNS_26BlockGemmPipelineSchedulerE1ELNS_24BlockGemmPipelineVersionE1EDF16bDF16bLb0ELb1ELb0ELi0ELb0EEELb1ELNS_25InMemoryDataOperationEnumE0ELi2ELNS_10TailNumberE2EEEvNT_8ArgumentE
                                        ; -- End function
	.set _ZN2ck27kernel_gemm_xdl_cshuffle_v3INS_28GridwiseGemm_xdl_cshuffle_v3INS_13tensor_layout4gemm8RowMajorENS3_11ColumnMajorES4_DF16bNS_7pk_i4_tEfDF16bDF16bNS_16tensor_operation12element_wise11PassThroughES9_S9_LNS7_6device18GemmSpecializationE0ELi128ELi16ELi64ELi128ELi8ELi32ELi16ELi16ELi1ELi1ENS_8SequenceIJLi16ELi8ELi1EEEENSC_IJLi1ELi0ELi2EEEESE_Li2ELi8ELi8ELb0ELi0ENSC_IJLi4ELi32ELi1EEEESE_SE_Li2ELi32ELi32ELb0ELi0ELi1ELi1ENSC_IJLi1ELi16ELi1ELi8EEEELi4ELNS_26BlockGemmPipelineSchedulerE1ELNS_24BlockGemmPipelineVersionE1EDF16bDF16bLb0ELb1ELb0ELi0ELb0EEELb1ELNS_25InMemoryDataOperationEnumE0ELi2ELNS_10TailNumberE2EEEvNT_8ArgumentE.num_vgpr, 143
	.set _ZN2ck27kernel_gemm_xdl_cshuffle_v3INS_28GridwiseGemm_xdl_cshuffle_v3INS_13tensor_layout4gemm8RowMajorENS3_11ColumnMajorES4_DF16bNS_7pk_i4_tEfDF16bDF16bNS_16tensor_operation12element_wise11PassThroughES9_S9_LNS7_6device18GemmSpecializationE0ELi128ELi16ELi64ELi128ELi8ELi32ELi16ELi16ELi1ELi1ENS_8SequenceIJLi16ELi8ELi1EEEENSC_IJLi1ELi0ELi2EEEESE_Li2ELi8ELi8ELb0ELi0ENSC_IJLi4ELi32ELi1EEEESE_SE_Li2ELi32ELi32ELb0ELi0ELi1ELi1ENSC_IJLi1ELi16ELi1ELi8EEEELi4ELNS_26BlockGemmPipelineSchedulerE1ELNS_24BlockGemmPipelineVersionE1EDF16bDF16bLb0ELb1ELb0ELi0ELb0EEELb1ELNS_25InMemoryDataOperationEnumE0ELi2ELNS_10TailNumberE2EEEvNT_8ArgumentE.num_agpr, 0
	.set _ZN2ck27kernel_gemm_xdl_cshuffle_v3INS_28GridwiseGemm_xdl_cshuffle_v3INS_13tensor_layout4gemm8RowMajorENS3_11ColumnMajorES4_DF16bNS_7pk_i4_tEfDF16bDF16bNS_16tensor_operation12element_wise11PassThroughES9_S9_LNS7_6device18GemmSpecializationE0ELi128ELi16ELi64ELi128ELi8ELi32ELi16ELi16ELi1ELi1ENS_8SequenceIJLi16ELi8ELi1EEEENSC_IJLi1ELi0ELi2EEEESE_Li2ELi8ELi8ELb0ELi0ENSC_IJLi4ELi32ELi1EEEESE_SE_Li2ELi32ELi32ELb0ELi0ELi1ELi1ENSC_IJLi1ELi16ELi1ELi8EEEELi4ELNS_26BlockGemmPipelineSchedulerE1ELNS_24BlockGemmPipelineVersionE1EDF16bDF16bLb0ELb1ELb0ELi0ELb0EEELb1ELNS_25InMemoryDataOperationEnumE0ELi2ELNS_10TailNumberE2EEEvNT_8ArgumentE.numbered_sgpr, 30
	.set _ZN2ck27kernel_gemm_xdl_cshuffle_v3INS_28GridwiseGemm_xdl_cshuffle_v3INS_13tensor_layout4gemm8RowMajorENS3_11ColumnMajorES4_DF16bNS_7pk_i4_tEfDF16bDF16bNS_16tensor_operation12element_wise11PassThroughES9_S9_LNS7_6device18GemmSpecializationE0ELi128ELi16ELi64ELi128ELi8ELi32ELi16ELi16ELi1ELi1ENS_8SequenceIJLi16ELi8ELi1EEEENSC_IJLi1ELi0ELi2EEEESE_Li2ELi8ELi8ELb0ELi0ENSC_IJLi4ELi32ELi1EEEESE_SE_Li2ELi32ELi32ELb0ELi0ELi1ELi1ENSC_IJLi1ELi16ELi1ELi8EEEELi4ELNS_26BlockGemmPipelineSchedulerE1ELNS_24BlockGemmPipelineVersionE1EDF16bDF16bLb0ELb1ELb0ELi0ELb0EEELb1ELNS_25InMemoryDataOperationEnumE0ELi2ELNS_10TailNumberE2EEEvNT_8ArgumentE.num_named_barrier, 0
	.set _ZN2ck27kernel_gemm_xdl_cshuffle_v3INS_28GridwiseGemm_xdl_cshuffle_v3INS_13tensor_layout4gemm8RowMajorENS3_11ColumnMajorES4_DF16bNS_7pk_i4_tEfDF16bDF16bNS_16tensor_operation12element_wise11PassThroughES9_S9_LNS7_6device18GemmSpecializationE0ELi128ELi16ELi64ELi128ELi8ELi32ELi16ELi16ELi1ELi1ENS_8SequenceIJLi16ELi8ELi1EEEENSC_IJLi1ELi0ELi2EEEESE_Li2ELi8ELi8ELb0ELi0ENSC_IJLi4ELi32ELi1EEEESE_SE_Li2ELi32ELi32ELb0ELi0ELi1ELi1ENSC_IJLi1ELi16ELi1ELi8EEEELi4ELNS_26BlockGemmPipelineSchedulerE1ELNS_24BlockGemmPipelineVersionE1EDF16bDF16bLb0ELb1ELb0ELi0ELb0EEELb1ELNS_25InMemoryDataOperationEnumE0ELi2ELNS_10TailNumberE2EEEvNT_8ArgumentE.private_seg_size, 0
	.set _ZN2ck27kernel_gemm_xdl_cshuffle_v3INS_28GridwiseGemm_xdl_cshuffle_v3INS_13tensor_layout4gemm8RowMajorENS3_11ColumnMajorES4_DF16bNS_7pk_i4_tEfDF16bDF16bNS_16tensor_operation12element_wise11PassThroughES9_S9_LNS7_6device18GemmSpecializationE0ELi128ELi16ELi64ELi128ELi8ELi32ELi16ELi16ELi1ELi1ENS_8SequenceIJLi16ELi8ELi1EEEENSC_IJLi1ELi0ELi2EEEESE_Li2ELi8ELi8ELb0ELi0ENSC_IJLi4ELi32ELi1EEEESE_SE_Li2ELi32ELi32ELb0ELi0ELi1ELi1ENSC_IJLi1ELi16ELi1ELi8EEEELi4ELNS_26BlockGemmPipelineSchedulerE1ELNS_24BlockGemmPipelineVersionE1EDF16bDF16bLb0ELb1ELb0ELi0ELb0EEELb1ELNS_25InMemoryDataOperationEnumE0ELi2ELNS_10TailNumberE2EEEvNT_8ArgumentE.uses_vcc, 1
	.set _ZN2ck27kernel_gemm_xdl_cshuffle_v3INS_28GridwiseGemm_xdl_cshuffle_v3INS_13tensor_layout4gemm8RowMajorENS3_11ColumnMajorES4_DF16bNS_7pk_i4_tEfDF16bDF16bNS_16tensor_operation12element_wise11PassThroughES9_S9_LNS7_6device18GemmSpecializationE0ELi128ELi16ELi64ELi128ELi8ELi32ELi16ELi16ELi1ELi1ENS_8SequenceIJLi16ELi8ELi1EEEENSC_IJLi1ELi0ELi2EEEESE_Li2ELi8ELi8ELb0ELi0ENSC_IJLi4ELi32ELi1EEEESE_SE_Li2ELi32ELi32ELb0ELi0ELi1ELi1ENSC_IJLi1ELi16ELi1ELi8EEEELi4ELNS_26BlockGemmPipelineSchedulerE1ELNS_24BlockGemmPipelineVersionE1EDF16bDF16bLb0ELb1ELb0ELi0ELb0EEELb1ELNS_25InMemoryDataOperationEnumE0ELi2ELNS_10TailNumberE2EEEvNT_8ArgumentE.uses_flat_scratch, 0
	.set _ZN2ck27kernel_gemm_xdl_cshuffle_v3INS_28GridwiseGemm_xdl_cshuffle_v3INS_13tensor_layout4gemm8RowMajorENS3_11ColumnMajorES4_DF16bNS_7pk_i4_tEfDF16bDF16bNS_16tensor_operation12element_wise11PassThroughES9_S9_LNS7_6device18GemmSpecializationE0ELi128ELi16ELi64ELi128ELi8ELi32ELi16ELi16ELi1ELi1ENS_8SequenceIJLi16ELi8ELi1EEEENSC_IJLi1ELi0ELi2EEEESE_Li2ELi8ELi8ELb0ELi0ENSC_IJLi4ELi32ELi1EEEESE_SE_Li2ELi32ELi32ELb0ELi0ELi1ELi1ENSC_IJLi1ELi16ELi1ELi8EEEELi4ELNS_26BlockGemmPipelineSchedulerE1ELNS_24BlockGemmPipelineVersionE1EDF16bDF16bLb0ELb1ELb0ELi0ELb0EEELb1ELNS_25InMemoryDataOperationEnumE0ELi2ELNS_10TailNumberE2EEEvNT_8ArgumentE.has_dyn_sized_stack, 0
	.set _ZN2ck27kernel_gemm_xdl_cshuffle_v3INS_28GridwiseGemm_xdl_cshuffle_v3INS_13tensor_layout4gemm8RowMajorENS3_11ColumnMajorES4_DF16bNS_7pk_i4_tEfDF16bDF16bNS_16tensor_operation12element_wise11PassThroughES9_S9_LNS7_6device18GemmSpecializationE0ELi128ELi16ELi64ELi128ELi8ELi32ELi16ELi16ELi1ELi1ENS_8SequenceIJLi16ELi8ELi1EEEENSC_IJLi1ELi0ELi2EEEESE_Li2ELi8ELi8ELb0ELi0ENSC_IJLi4ELi32ELi1EEEESE_SE_Li2ELi32ELi32ELb0ELi0ELi1ELi1ENSC_IJLi1ELi16ELi1ELi8EEEELi4ELNS_26BlockGemmPipelineSchedulerE1ELNS_24BlockGemmPipelineVersionE1EDF16bDF16bLb0ELb1ELb0ELi0ELb0EEELb1ELNS_25InMemoryDataOperationEnumE0ELi2ELNS_10TailNumberE2EEEvNT_8ArgumentE.has_recursion, 0
	.set _ZN2ck27kernel_gemm_xdl_cshuffle_v3INS_28GridwiseGemm_xdl_cshuffle_v3INS_13tensor_layout4gemm8RowMajorENS3_11ColumnMajorES4_DF16bNS_7pk_i4_tEfDF16bDF16bNS_16tensor_operation12element_wise11PassThroughES9_S9_LNS7_6device18GemmSpecializationE0ELi128ELi16ELi64ELi128ELi8ELi32ELi16ELi16ELi1ELi1ENS_8SequenceIJLi16ELi8ELi1EEEENSC_IJLi1ELi0ELi2EEEESE_Li2ELi8ELi8ELb0ELi0ENSC_IJLi4ELi32ELi1EEEESE_SE_Li2ELi32ELi32ELb0ELi0ELi1ELi1ENSC_IJLi1ELi16ELi1ELi8EEEELi4ELNS_26BlockGemmPipelineSchedulerE1ELNS_24BlockGemmPipelineVersionE1EDF16bDF16bLb0ELb1ELb0ELi0ELb0EEELb1ELNS_25InMemoryDataOperationEnumE0ELi2ELNS_10TailNumberE2EEEvNT_8ArgumentE.has_indirect_call, 0
	.section	.AMDGPU.csdata,"",@progbits
; Kernel info:
; codeLenInByte = 12688
; TotalNumSgprs: 32
; NumVgprs: 143
; ScratchSize: 0
; MemoryBound: 0
; FloatMode: 240
; IeeeMode: 1
; LDSByteSize: 8192 bytes/workgroup (compile time only)
; SGPRBlocks: 0
; VGPRBlocks: 17
; NumSGPRsForWavesPerEU: 32
; NumVGPRsForWavesPerEU: 143
; Occupancy: 10
; WaveLimiterHint : 0
; COMPUTE_PGM_RSRC2:SCRATCH_EN: 0
; COMPUTE_PGM_RSRC2:USER_SGPR: 2
; COMPUTE_PGM_RSRC2:TRAP_HANDLER: 0
; COMPUTE_PGM_RSRC2:TGID_X_EN: 1
; COMPUTE_PGM_RSRC2:TGID_Y_EN: 0
; COMPUTE_PGM_RSRC2:TGID_Z_EN: 1
; COMPUTE_PGM_RSRC2:TIDIG_COMP_CNT: 0
	.section	.text._ZN2ck27kernel_gemm_xdl_cshuffle_v3INS_28GridwiseGemm_xdl_cshuffle_v3INS_13tensor_layout4gemm8RowMajorENS3_11ColumnMajorES4_DF16bNS_7pk_i4_tEfDF16bDF16bNS_16tensor_operation12element_wise11PassThroughES9_S9_LNS7_6device18GemmSpecializationE0ELi128ELi16ELi64ELi128ELi8ELi32ELi16ELi16ELi1ELi1ENS_8SequenceIJLi16ELi8ELi1EEEENSC_IJLi1ELi0ELi2EEEESE_Li2ELi8ELi8ELb0ELi0ENSC_IJLi4ELi32ELi1EEEESE_SE_Li2ELi32ELi32ELb0ELi0ELi1ELi1ENSC_IJLi1ELi16ELi1ELi8EEEELi4ELNS_26BlockGemmPipelineSchedulerE1ELNS_24BlockGemmPipelineVersionE1EDF16bDF16bLb0ELb1ELb0ELi0ELb0EEELb1ELNS_25InMemoryDataOperationEnumE0ELi2ELNS_10TailNumberE10EEEvNT_8ArgumentE,"axG",@progbits,_ZN2ck27kernel_gemm_xdl_cshuffle_v3INS_28GridwiseGemm_xdl_cshuffle_v3INS_13tensor_layout4gemm8RowMajorENS3_11ColumnMajorES4_DF16bNS_7pk_i4_tEfDF16bDF16bNS_16tensor_operation12element_wise11PassThroughES9_S9_LNS7_6device18GemmSpecializationE0ELi128ELi16ELi64ELi128ELi8ELi32ELi16ELi16ELi1ELi1ENS_8SequenceIJLi16ELi8ELi1EEEENSC_IJLi1ELi0ELi2EEEESE_Li2ELi8ELi8ELb0ELi0ENSC_IJLi4ELi32ELi1EEEESE_SE_Li2ELi32ELi32ELb0ELi0ELi1ELi1ENSC_IJLi1ELi16ELi1ELi8EEEELi4ELNS_26BlockGemmPipelineSchedulerE1ELNS_24BlockGemmPipelineVersionE1EDF16bDF16bLb0ELb1ELb0ELi0ELb0EEELb1ELNS_25InMemoryDataOperationEnumE0ELi2ELNS_10TailNumberE10EEEvNT_8ArgumentE,comdat
	.protected	_ZN2ck27kernel_gemm_xdl_cshuffle_v3INS_28GridwiseGemm_xdl_cshuffle_v3INS_13tensor_layout4gemm8RowMajorENS3_11ColumnMajorES4_DF16bNS_7pk_i4_tEfDF16bDF16bNS_16tensor_operation12element_wise11PassThroughES9_S9_LNS7_6device18GemmSpecializationE0ELi128ELi16ELi64ELi128ELi8ELi32ELi16ELi16ELi1ELi1ENS_8SequenceIJLi16ELi8ELi1EEEENSC_IJLi1ELi0ELi2EEEESE_Li2ELi8ELi8ELb0ELi0ENSC_IJLi4ELi32ELi1EEEESE_SE_Li2ELi32ELi32ELb0ELi0ELi1ELi1ENSC_IJLi1ELi16ELi1ELi8EEEELi4ELNS_26BlockGemmPipelineSchedulerE1ELNS_24BlockGemmPipelineVersionE1EDF16bDF16bLb0ELb1ELb0ELi0ELb0EEELb1ELNS_25InMemoryDataOperationEnumE0ELi2ELNS_10TailNumberE10EEEvNT_8ArgumentE ; -- Begin function _ZN2ck27kernel_gemm_xdl_cshuffle_v3INS_28GridwiseGemm_xdl_cshuffle_v3INS_13tensor_layout4gemm8RowMajorENS3_11ColumnMajorES4_DF16bNS_7pk_i4_tEfDF16bDF16bNS_16tensor_operation12element_wise11PassThroughES9_S9_LNS7_6device18GemmSpecializationE0ELi128ELi16ELi64ELi128ELi8ELi32ELi16ELi16ELi1ELi1ENS_8SequenceIJLi16ELi8ELi1EEEENSC_IJLi1ELi0ELi2EEEESE_Li2ELi8ELi8ELb0ELi0ENSC_IJLi4ELi32ELi1EEEESE_SE_Li2ELi32ELi32ELb0ELi0ELi1ELi1ENSC_IJLi1ELi16ELi1ELi8EEEELi4ELNS_26BlockGemmPipelineSchedulerE1ELNS_24BlockGemmPipelineVersionE1EDF16bDF16bLb0ELb1ELb0ELi0ELb0EEELb1ELNS_25InMemoryDataOperationEnumE0ELi2ELNS_10TailNumberE10EEEvNT_8ArgumentE
	.globl	_ZN2ck27kernel_gemm_xdl_cshuffle_v3INS_28GridwiseGemm_xdl_cshuffle_v3INS_13tensor_layout4gemm8RowMajorENS3_11ColumnMajorES4_DF16bNS_7pk_i4_tEfDF16bDF16bNS_16tensor_operation12element_wise11PassThroughES9_S9_LNS7_6device18GemmSpecializationE0ELi128ELi16ELi64ELi128ELi8ELi32ELi16ELi16ELi1ELi1ENS_8SequenceIJLi16ELi8ELi1EEEENSC_IJLi1ELi0ELi2EEEESE_Li2ELi8ELi8ELb0ELi0ENSC_IJLi4ELi32ELi1EEEESE_SE_Li2ELi32ELi32ELb0ELi0ELi1ELi1ENSC_IJLi1ELi16ELi1ELi8EEEELi4ELNS_26BlockGemmPipelineSchedulerE1ELNS_24BlockGemmPipelineVersionE1EDF16bDF16bLb0ELb1ELb0ELi0ELb0EEELb1ELNS_25InMemoryDataOperationEnumE0ELi2ELNS_10TailNumberE10EEEvNT_8ArgumentE
	.p2align	8
	.type	_ZN2ck27kernel_gemm_xdl_cshuffle_v3INS_28GridwiseGemm_xdl_cshuffle_v3INS_13tensor_layout4gemm8RowMajorENS3_11ColumnMajorES4_DF16bNS_7pk_i4_tEfDF16bDF16bNS_16tensor_operation12element_wise11PassThroughES9_S9_LNS7_6device18GemmSpecializationE0ELi128ELi16ELi64ELi128ELi8ELi32ELi16ELi16ELi1ELi1ENS_8SequenceIJLi16ELi8ELi1EEEENSC_IJLi1ELi0ELi2EEEESE_Li2ELi8ELi8ELb0ELi0ENSC_IJLi4ELi32ELi1EEEESE_SE_Li2ELi32ELi32ELb0ELi0ELi1ELi1ENSC_IJLi1ELi16ELi1ELi8EEEELi4ELNS_26BlockGemmPipelineSchedulerE1ELNS_24BlockGemmPipelineVersionE1EDF16bDF16bLb0ELb1ELb0ELi0ELb0EEELb1ELNS_25InMemoryDataOperationEnumE0ELi2ELNS_10TailNumberE10EEEvNT_8ArgumentE,@function
_ZN2ck27kernel_gemm_xdl_cshuffle_v3INS_28GridwiseGemm_xdl_cshuffle_v3INS_13tensor_layout4gemm8RowMajorENS3_11ColumnMajorES4_DF16bNS_7pk_i4_tEfDF16bDF16bNS_16tensor_operation12element_wise11PassThroughES9_S9_LNS7_6device18GemmSpecializationE0ELi128ELi16ELi64ELi128ELi8ELi32ELi16ELi16ELi1ELi1ENS_8SequenceIJLi16ELi8ELi1EEEENSC_IJLi1ELi0ELi2EEEESE_Li2ELi8ELi8ELb0ELi0ENSC_IJLi4ELi32ELi1EEEESE_SE_Li2ELi32ELi32ELb0ELi0ELi1ELi1ENSC_IJLi1ELi16ELi1ELi8EEEELi4ELNS_26BlockGemmPipelineSchedulerE1ELNS_24BlockGemmPipelineVersionE1EDF16bDF16bLb0ELb1ELb0ELi0ELb0EEELb1ELNS_25InMemoryDataOperationEnumE0ELi2ELNS_10TailNumberE10EEEvNT_8ArgumentE: ; @_ZN2ck27kernel_gemm_xdl_cshuffle_v3INS_28GridwiseGemm_xdl_cshuffle_v3INS_13tensor_layout4gemm8RowMajorENS3_11ColumnMajorES4_DF16bNS_7pk_i4_tEfDF16bDF16bNS_16tensor_operation12element_wise11PassThroughES9_S9_LNS7_6device18GemmSpecializationE0ELi128ELi16ELi64ELi128ELi8ELi32ELi16ELi16ELi1ELi1ENS_8SequenceIJLi16ELi8ELi1EEEENSC_IJLi1ELi0ELi2EEEESE_Li2ELi8ELi8ELb0ELi0ENSC_IJLi4ELi32ELi1EEEESE_SE_Li2ELi32ELi32ELb0ELi0ELi1ELi1ENSC_IJLi1ELi16ELi1ELi8EEEELi4ELNS_26BlockGemmPipelineSchedulerE1ELNS_24BlockGemmPipelineVersionE1EDF16bDF16bLb0ELb1ELb0ELi0ELb0EEELb1ELNS_25InMemoryDataOperationEnumE0ELi2ELNS_10TailNumberE10EEEvNT_8ArgumentE
; %bb.0:
	s_clause 0x4
	s_load_b96 s[12:14], s[0:1], 0x20
	s_load_b96 s[16:18], s[0:1], 0x60
	s_load_b128 s[4:7], s[0:1], 0x10
	s_load_b32 s22, s[0:1], 0x3c
	s_load_b128 s[8:11], s[0:1], 0x50
	s_lshr_b32 s2, ttmp7, 16
	s_mov_b32 s23, ttmp9
	s_mov_b64 s[20:21], 0
	s_wait_kmcnt 0x0
	s_cmp_gt_i32 s14, 1
	s_cselect_b32 s3, -1, 0
	s_bitcmp1_b32 s18, 0
	s_cselect_b32 s15, -1, 0
	s_delay_alu instid0(SALU_CYCLE_1) | instskip(NEXT) | instid1(SALU_CYCLE_1)
	s_and_b32 s3, s3, s15
	s_and_not1_b32 vcc_lo, exec_lo, s3
	s_cbranch_vccnz .LBB9_2
; %bb.1:
	s_mul_i32 s3, s4, s2
	s_delay_alu instid0(SALU_CYCLE_1) | instskip(NEXT) | instid1(SALU_CYCLE_1)
	s_mul_i32 s20, s3, s5
	s_ashr_i32 s21, s20, 31
.LBB9_2:
	s_load_b32 s3, s[0:1], 0x34
	s_add_co_i32 s19, s4, -1
	s_mov_b32 s18, 0
	s_cmp_lt_u32 s19, 16
	s_cbranch_scc1 .LBB9_6
; %bb.3:
	s_add_co_i32 s0, s5, -1
	s_delay_alu instid0(SALU_CYCLE_1)
	s_cmp_lt_u32 s0, 64
	s_mov_b32 s0, 0
	s_cbranch_scc1 .LBB9_10
; %bb.4:
	s_add_co_i32 s0, s4, 15
	s_add_co_i32 s1, s5, 63
	s_ashr_i32 s15, s0, 31
	s_ashr_i32 s24, s1, 31
	s_lshr_b32 s15, s15, 28
	s_lshr_b32 s24, s24, 26
	s_add_co_i32 s0, s0, s15
	s_add_co_i32 s15, s1, s24
	s_ashr_i32 s1, s0, 4
	s_ashr_i32 s0, s15, 6
	;; [unrolled: 1-line block ×3, first 2 shown]
	s_mul_i32 s15, s0, s1
	s_delay_alu instid0(SALU_CYCLE_1) | instskip(NEXT) | instid1(SALU_CYCLE_1)
	s_add_co_i32 s24, s15, 7
	s_ashr_i32 s25, s24, 31
	s_delay_alu instid0(SALU_CYCLE_1) | instskip(NEXT) | instid1(SALU_CYCLE_1)
	s_lshr_b32 s25, s25, 29
	s_add_co_i32 s25, s24, s25
	s_lshr_b32 s24, s26, 29
	s_and_b32 s27, s25, -8
	s_add_co_i32 s26, s23, s24
	s_sub_co_i32 s24, s15, s27
	s_and_b32 s15, s26, -8
	s_add_co_i32 s24, s24, 8
	s_sub_co_i32 s23, s23, s15
	s_ashr_i32 s25, s25, 3
	s_cmp_gt_i32 s23, s24
	s_cbranch_scc1 .LBB9_7
; %bb.5:
	s_mul_i32 s15, s25, s23
	s_ashr_i32 s26, s26, 3
	s_cbranch_execz .LBB9_8
	s_branch .LBB9_9
.LBB9_6:
	s_mov_b32 s15, s18
	s_branch .LBB9_11
.LBB9_7:
                                        ; implicit-def: $sgpr15
	s_ashr_i32 s26, s26, 3
.LBB9_8:
	s_add_co_i32 s15, s25, -1
	s_delay_alu instid0(SALU_CYCLE_1) | instskip(NEXT) | instid1(SALU_CYCLE_1)
	s_mul_i32 s15, s15, s23
	s_add_co_i32 s15, s24, s15
.LBB9_9:
	s_abs_i32 s23, s0
	s_add_co_i32 s15, s15, s26
	s_cvt_f32_u32 s24, s23
	s_sub_co_i32 s25, 0, s23
	s_abs_i32 s26, s15
	s_delay_alu instid0(SALU_CYCLE_1) | instskip(NEXT) | instid1(TRANS32_DEP_1)
	v_rcp_iflag_f32_e32 v1, s24
	v_readfirstlane_b32 s24, v1
	s_mul_f32 s24, s24, 0x4f7ffffe
	s_wait_alu 0xfffe
	s_delay_alu instid0(SALU_CYCLE_2) | instskip(SKIP_1) | instid1(SALU_CYCLE_2)
	s_cvt_u32_f32 s24, s24
	s_wait_alu 0xfffe
	s_mul_i32 s25, s25, s24
	s_wait_alu 0xfffe
	s_mul_hi_u32 s25, s24, s25
	s_wait_alu 0xfffe
	s_add_co_i32 s24, s24, s25
	s_xor_b32 s25, s15, s0
	s_wait_alu 0xfffe
	s_mul_hi_u32 s24, s26, s24
	s_ashr_i32 s25, s25, 31
	s_wait_alu 0xfffe
	s_mul_i32 s27, s24, s23
	s_delay_alu instid0(SALU_CYCLE_1)
	s_sub_co_i32 s26, s26, s27
	s_add_co_i32 s27, s24, 1
	s_sub_co_i32 s28, s26, s23
	s_cmp_ge_u32 s26, s23
	s_cselect_b32 s24, s27, s24
	s_cselect_b32 s26, s28, s26
	s_wait_alu 0xfffe
	s_add_co_i32 s27, s24, 1
	s_cmp_ge_u32 s26, s23
	s_cselect_b32 s23, s27, s24
	s_lshr_b32 s24, s1, 30
	s_xor_b32 s23, s23, s25
	s_wait_alu 0xfffe
	s_add_co_i32 s24, s1, s24
	s_sub_co_i32 s23, s23, s25
	s_wait_alu 0xfffe
	s_and_b32 s24, s24, -4
	s_mul_i32 s25, s23, s0
	s_wait_alu 0xfffe
	s_sub_co_i32 s1, s1, s24
	s_sub_co_i32 s15, s15, s25
	s_cmp_ge_i32 s23, s24
	s_cselect_b32 s1, s1, 4
	s_ashr_i32 s26, s23, 31
	s_abs_i32 s24, s1
	s_lshr_b32 s26, s26, 30
	s_wait_alu 0xfffe
	s_cvt_f32_u32 s25, s24
	s_add_co_i32 s26, s23, s26
	s_sub_co_i32 s27, 0, s24
	s_and_b32 s26, s26, -4
	s_wait_alu 0xfffe
	v_rcp_iflag_f32_e32 v1, s25
	s_sub_co_i32 s26, s23, s26
	s_delay_alu instid0(SALU_CYCLE_1) | instskip(NEXT) | instid1(SALU_CYCLE_1)
	s_mul_i32 s0, s26, s0
	s_add_co_i32 s15, s0, s15
	s_delay_alu instid0(TRANS32_DEP_1) | instskip(SKIP_2) | instid1(SALU_CYCLE_2)
	v_readfirstlane_b32 s25, v1
	s_mul_f32 s25, s25, 0x4f7ffffe
	s_wait_alu 0xfffe
	s_cvt_u32_f32 s25, s25
	s_wait_alu 0xfffe
	s_delay_alu instid0(SALU_CYCLE_2) | instskip(NEXT) | instid1(SALU_CYCLE_1)
	s_mul_i32 s27, s27, s25
	s_mul_hi_u32 s0, s25, s27
	s_abs_i32 s27, s15
	s_add_co_i32 s25, s25, s0
	s_wait_alu 0xfffe
	s_mul_hi_u32 s0, s27, s25
	s_xor_b32 s25, s15, s1
	s_mul_i32 s28, s0, s24
	s_wait_alu 0xfffe
	s_ashr_i32 s25, s25, 31
	s_sub_co_i32 s27, s27, s28
	s_add_co_i32 s28, s0, 1
	s_sub_co_i32 s29, s27, s24
	s_cmp_ge_u32 s27, s24
	s_cselect_b32 s0, s28, s0
	s_cselect_b32 s27, s29, s27
	s_add_co_i32 s28, s0, 1
	s_cmp_ge_u32 s27, s24
	s_cselect_b32 s0, s28, s0
	s_wait_alu 0xfffe
	s_xor_b32 s0, s0, s25
	s_delay_alu instid0(SALU_CYCLE_1) | instskip(NEXT) | instid1(SALU_CYCLE_1)
	s_sub_co_i32 s0, s0, s25
	s_mul_i32 s1, s0, s1
	s_delay_alu instid0(SALU_CYCLE_1) | instskip(NEXT) | instid1(SALU_CYCLE_1)
	s_sub_co_i32 s1, s15, s1
	s_add_co_i32 s1, s1, s23
	s_delay_alu instid0(SALU_CYCLE_1)
	s_sub_co_i32 s23, s1, s26
.LBB9_10:
	s_delay_alu instid0(SALU_CYCLE_1)
	s_mov_b32 s15, s23
	s_mov_b32 s23, s0
.LBB9_11:
	v_lshrrev_b32_e32 v91, 3, v0
	s_wait_kmcnt 0x0
	s_mul_i32 s0, s3, s2
	s_ashr_i32 s25, s12, 31
	s_ashr_i32 s1, s0, 31
	s_mul_i32 s24, s0, s5
	v_dual_mov_b32 v58, 3 :: v_dual_and_b32 v53, 14, v91
	s_lshl_b64 s[0:1], s[0:1], 1
	s_wait_alu 0xfffe
	s_lshr_b32 s25, s25, 25
	s_add_nc_u64 s[0:1], s[8:9], s[0:1]
	v_lshl_or_b32 v1, s15, 4, v53
	s_wait_alu 0xfffe
	s_add_co_i32 s8, s12, s25
	s_lshr_b32 s24, s24, 1
	s_ashr_i32 s26, s8, 7
	s_add_co_i32 s8, s14, -1
	v_mul_lo_u32 v54, v1, s7
	s_mul_i32 s9, s8, s3
	s_lshl_b32 s12, s5, 7
	s_sub_co_i32 s6, s6, s9
	v_lshrrev_b32_e32 v92, 1, v0
	v_and_b32_e32 v2, 3, v0
	v_and_b32_e32 v105, 15, v0
	s_cmp_lt_u32 s2, s8
	s_mov_b32 s2, s7
	s_wait_alu 0xfffe
	s_cselect_b32 s8, s3, s6
	s_lshl_b32 s6, s23, 6
	v_lshlrev_b32_e32 v3, 5, v2
	s_wait_alu 0xfffe
	v_and_or_b32 v1, v92, 62, s6
	v_lshl_add_u32 v4, v105, 3, v54
	s_mov_b32 s3, s18
	s_and_b32 s1, s1, 0xffff
	s_mul_u64 s[2:3], s[18:19], s[2:3]
	v_lshl_or_b32 v1, v1, 7, v3
	v_lshlrev_b32_e32 v3, 1, v4
	s_add_co_i32 s8, s8, s3
	v_add_lshl_u32 v9, v4, s7, 1
	s_lshl_b32 s2, s8, 1
	s_mov_b32 s3, 0x31004000
	s_mov_b32 s25, s18
	s_clause 0x1
	buffer_load_b128 v[5:8], v3, s[0:3], null offen
	buffer_load_b128 v[41:44], v9, s[0:3], null offen
	v_ashrrev_i32_e32 v3, 1, v1
	v_add_nc_u32_e32 v9, 0x80, v4
	v_add_nc_u32_e32 v1, s12, v1
	s_add_nc_u64 s[8:9], s[10:11], s[24:25]
	s_mul_i32 s10, s5, s26
	s_and_b32 s9, s9, 0xffff
	s_lshl_b32 s10, s10, 6
	s_mov_b32 s11, s3
	s_clause 0x1
	buffer_load_b128 v[45:48], v3, s[8:11], null offen
	buffer_load_b128 v[49:52], v3, s[8:11], null offen offset:64
	v_lshlrev_b32_e32 v3, 1, v9
	v_add_nc_u32_e32 v55, s12, v1
	v_add_lshl_u32 v9, v9, s7, 1
	v_add_nc_u32_e32 v10, 0x80, v1
	v_add_nc_u32_e32 v4, 0x100, v4
	s_clause 0x1
	buffer_load_b128 v[37:40], v3, s[0:3], null offen
	buffer_load_b128 v[33:36], v9, s[0:3], null offen
	v_ashrrev_i32_e32 v1, 1, v1
	v_add_nc_u32_e32 v3, 0x80, v55
	v_ashrrev_i32_e32 v9, 1, v10
	v_lshlrev_b32_e32 v10, 1, v4
	v_add_lshl_u32 v4, v4, s7, 1
	v_ashrrev_i32_e32 v17, 1, v55
	v_ashrrev_i32_e32 v3, 1, v3
	s_clause 0x1
	buffer_load_b128 v[29:32], v1, s[8:11], null offen
	buffer_load_b128 v[25:28], v9, s[8:11], null offen
	s_clause 0x1
	buffer_load_b128 v[9:12], v10, s[0:3], null offen
	buffer_load_b128 v[13:16], v4, s[0:3], null offen
	;; [unrolled: 3-line block ×3, first 2 shown]
	v_lshlrev_b32_e32 v4, 2, v0
	v_bfe_u32 v56, v0, 2, 3
	v_mov_b32_e32 v1, 0
	v_lshlrev_b32_e32 v57, 1, v2
	v_lshrrev_b32_e32 v3, 2, v0
	v_and_b32_e32 v60, 64, v4
	v_or_b32_e32 v106, 12, v2
	v_or_b32_e32 v107, 1, v91
	v_xor_b32_e32 v64, v57, v56
	v_or_b32_e32 v57, 1, v57
	v_lshrrev_b32_e32 v65, 3, v60
	v_lshrrev_b32_e32 v66, 5, v60
	;; [unrolled: 1-line block ×3, first 2 shown]
	v_or_b32_e32 v60, 32, v60
	v_mov_b32_e32 v2, v1
	v_and_or_b32 v62, v92, 48, v105
	v_xor_b32_e32 v56, v57, v56
	v_and_or_b32 v68, v0, 1, v68
	v_lshrrev_b32_e32 v72, 3, v60
	v_lshrrev_b32_e32 v60, 5, v60
	v_lshlrev_b32_e32 v59, 8, v3
	v_xor_b32_e32 v110, v53, v105
	v_lshlrev_b32_e32 v63, 7, v53
	v_lshrrev_b32_e32 v67, 1, v62
	v_sub_nc_u32_e32 v60, v60, v66
	v_bfe_u32 v62, v62, 1, 3
	v_or_b32_e32 v69, 1, v53
	v_sub_nc_u32_e32 v53, v107, v53
	v_sub_nc_u32_e32 v66, v56, v64
	;; [unrolled: 1-line block ×3, first 2 shown]
	v_lshl_add_u32 v60, v60, 1, v68
	v_lshlrev_b32_e32 v61, 8, v105
	v_lshl_or_b32 v109, v64, 5, v59
	v_xor_b32_e32 v59, v65, v105
	v_lshlrev_b32_e32 v67, 8, v67
	v_xor_b32_e32 v69, v69, v105
	v_or_b32_e32 v57, 1, v65
	v_or_b32_e32 v70, 2, v65
	;; [unrolled: 1-line block ×6, first 2 shown]
	v_lshlrev_b32_e32 v111, 7, v53
	v_add_nc_u32_e32 v112, -1, v53
	v_xor_b32_e32 v53, v62, v68
	v_lshlrev_b32_e32 v115, 5, v56
	v_xor_b32_e32 v56, v60, v62
	v_lshl_or_b32 v63, v110, 3, v63
	v_lshl_or_b32 v94, v59, 4, v61
	v_sub_nc_u32_e32 v61, v69, v110
	v_sub_nc_u32_e32 v69, v110, v69
	v_xor_b32_e32 v57, v57, v105
	v_xor_b32_e32 v70, v70, v105
	;; [unrolled: 1-line block ×7, first 2 shown]
	v_add_nc_u32_e32 v64, s7, v54
	v_lshlrev_b32_e32 v113, 1, v54
	v_lshl_or_b32 v54, v53, 5, v67
	v_lshlrev_b32_e32 v114, 5, v66
	v_sub_nc_u32_e32 v53, v56, v53
	v_lshlrev_b32_e32 v75, 1, v63
	s_ashr_i32 s14, s22, 31
	v_lshlrev_b32_e32 v67, 3, v61
	v_lshlrev_b32_e32 v68, 3, v69
	v_sub_nc_u32_e32 v57, v57, v59
	v_sub_nc_u32_e32 v66, v70, v59
	v_sub_nc_u32_e32 v70, v71, v59
	v_sub_nc_u32_e32 v71, v72, v59
	v_sub_nc_u32_e32 v72, v73, v59
	v_sub_nc_u32_e32 v73, v74, v59
	v_sub_nc_u32_e32 v59, v65, v59
	v_add_nc_u32_e32 v60, v114, v109
	v_lshl_add_u32 v53, v53, 5, v54
	v_lshl_add_u32 v69, v61, 4, v75
	s_wait_alu 0xfffe
	s_lshr_b32 s14, s14, 28
	v_lshrrev_b32_e32 v76, 1, v109
	s_wait_alu 0xfffe
	s_add_co_i32 s22, s22, s14
	v_dual_mov_b32 v3, v1 :: v_dual_lshlrev_b32 v108, 4, v105
	v_mov_b32_e32 v4, v1
	v_lshl_add_u32 v116, v64, 1, 0x500
	v_add3_u32 v61, v67, v63, v68
	v_lshl_add_u32 v95, v57, 4, v94
	v_lshl_add_u32 v96, v66, 4, v94
	v_lshl_add_u32 v97, v70, 4, v94
	v_lshl_add_u32 v98, v71, 4, v94
	v_lshl_add_u32 v99, v72, 4, v94
	v_lshl_add_u32 v100, v73, 4, v94
	v_lshl_add_u32 v101, v59, 4, v94
	v_lshrrev_b32_e32 v102, 1, v54
	v_add_nc_u32_e32 v57, s12, v55
	v_ashrrev_i32_e32 v54, 1, v60
	v_ashrrev_i32_e32 v93, 1, v53
	s_ashr_i32 s14, s22, 4
	s_mov_b32 s7, s18
	s_wait_alu 0xfffe
	s_add_co_i32 s14, s14, -3
	s_wait_loadcnt 0xb
	ds_store_b128 v75, v[5:8]
	s_wait_loadcnt 0xa
	ds_store_b128 v69, v[41:44] offset:256
	s_wait_loadcnt 0x9
	ds_store_b128 v76, v[45:48] offset:4096
	v_dual_mov_b32 v5, v1 :: v_dual_mov_b32 v6, v1
	v_dual_mov_b32 v7, v1 :: v_dual_mov_b32 v8, v1
	s_wait_loadcnt 0x8
	ds_store_b128 v54, v[49:52] offset:4096
.LBB9_12:                               ; =>This Inner Loop Header: Depth=1
	s_wait_dscnt 0x0
	s_barrier_signal -1
	s_barrier_wait -1
	ds_load_b128 v[49:52], v102 offset:4096
	ds_load_b128 v[53:56], v94
	ds_load_b128 v[62:65], v95
	;; [unrolled: 1-line block ×8, first 2 shown]
	ds_load_b128 v[82:85], v93 offset:4096
	s_wait_dscnt 0x9
	v_lshrrev_b32_e32 v60, 4, v49
	v_and_or_b32 v59, v49, 15, 0x4b000000
	v_lshrrev_b32_e32 v86, 8, v49
	v_lshrrev_b32_e32 v87, 12, v49
	v_ashrrev_i32_e32 v49, 16, v49
	v_and_or_b32 v60, v60, 15, 0x4b000000
	v_add_f32_e32 v59, 0xcb000008, v59
	v_and_or_b32 v86, v86, 15, 0x4b000000
	v_and_or_b32 v87, v87, 15, 0x4b000000
	v_lshrrev_b32_e32 v88, 4, v49
	v_and_or_b32 v104, v49, 15, 0x4b000000
	v_lshrrev_b32_e32 v117, 8, v49
	v_lshrrev_b32_e32 v49, 12, v49
	v_add_f32_e32 v60, 0xcb000008, v60
	v_lshrrev_b32_e32 v89, 4, v50
	v_lshrrev_b32_e32 v90, 8, v50
	;; [unrolled: 1-line block ×3, first 2 shown]
	v_and_or_b32 v49, v49, 15, 0x4b000000
	v_add_f32_e32 v118, 0xcb000008, v86
	v_add_f32_e32 v86, 0xcb000008, v87
	v_lshrrev_b32_e32 v60, 16, v60
	v_and_or_b32 v87, v117, 15, 0x4b000000
	v_and_or_b32 v88, v88, 15, 0x4b000000
	v_add_f32_e32 v49, 0xcb000008, v49
	v_lshrrev_b32_e32 v117, 16, v86
	v_and_or_b32 v86, 0xffff0000, v59, v60
	v_and_or_b32 v59, v50, 15, 0x4b000000
	v_ashrrev_i32_e32 v50, 16, v50
	v_and_or_b32 v60, v89, 15, 0x4b000000
	v_and_or_b32 v89, v90, 15, 0x4b000000
	;; [unrolled: 1-line block ×3, first 2 shown]
	v_dual_add_f32 v88, 0xcb000008, v88 :: v_dual_add_f32 v119, 0xcb000008, v87
	v_lshrrev_b32_e32 v103, 4, v50
	v_dual_add_f32 v104, 0xcb000008, v104 :: v_dual_add_f32 v59, 0xcb000008, v59
	s_delay_alu instid0(VALU_DEP_3) | instskip(SKIP_1) | instid1(VALU_DEP_4)
	v_lshrrev_b32_e32 v88, 16, v88
	v_and_or_b32 v87, 0xffff0000, v118, v117
	v_and_or_b32 v103, v103, 15, 0x4b000000
	v_add_f32_e32 v60, 0xcb000008, v60
	v_lshrrev_b32_e32 v49, 16, v49
	v_and_or_b32 v88, 0xffff0000, v104, v88
	v_lshrrev_b32_e32 v104, 12, v50
	v_add_f32_e32 v103, 0xcb000008, v103
	v_lshrrev_b32_e32 v60, 16, v60
	s_delay_alu instid0(VALU_DEP_3) | instskip(NEXT) | instid1(VALU_DEP_3)
	v_and_or_b32 v104, v104, 15, 0x4b000000
	v_lshrrev_b32_e32 v103, 16, v103
	s_delay_alu instid0(VALU_DEP_3) | instskip(SKIP_2) | instid1(VALU_DEP_2)
	v_and_or_b32 v117, 0xffff0000, v59, v60
	v_lshrrev_b32_e32 v59, 12, v51
	v_and_or_b32 v60, v51, 15, 0x4b000000
	v_and_or_b32 v59, v59, 15, 0x4b000000
	v_dual_add_f32 v118, 0xcb000008, v89 :: v_dual_add_f32 v89, 0xcb000008, v90
	v_lshrrev_b32_e32 v90, 8, v50
	v_and_or_b32 v50, v50, 15, 0x4b000000
	s_delay_alu instid0(VALU_DEP_4) | instskip(NEXT) | instid1(VALU_DEP_4)
	v_dual_add_f32 v59, 0xcb000008, v59 :: v_dual_add_f32 v60, 0xcb000008, v60
	v_lshrrev_b32_e32 v120, 16, v89
	v_and_or_b32 v89, 0xffff0000, v119, v49
	v_lshrrev_b32_e32 v49, 4, v51
	v_and_or_b32 v90, v90, 15, 0x4b000000
	v_add_f32_e32 v50, 0xcb000008, v50
	v_and_or_b32 v118, 0xffff0000, v118, v120
	v_lshrrev_b32_e32 v59, 16, v59
	v_and_or_b32 v49, v49, 15, 0x4b000000
	v_add_f32_e32 v104, 0xcb000008, v104
	v_add_f32_e32 v90, 0xcb000008, v90
	v_and_or_b32 v119, 0xffff0000, v50, v103
	v_lshrrev_b32_e32 v50, 8, v51
	v_ashrrev_i32_e32 v51, 16, v51
	v_add_f32_e32 v49, 0xcb000008, v49
	v_lshrrev_b32_e32 v104, 16, v104
	s_delay_alu instid0(VALU_DEP_4) | instskip(NEXT) | instid1(VALU_DEP_4)
	v_and_or_b32 v50, v50, 15, 0x4b000000
	v_lshrrev_b32_e32 v103, 12, v51
	s_delay_alu instid0(VALU_DEP_4) | instskip(NEXT) | instid1(VALU_DEP_4)
	v_lshrrev_b32_e32 v49, 16, v49
	v_and_or_b32 v120, 0xffff0000, v90, v104
	v_lshrrev_b32_e32 v90, 4, v51
	v_lshrrev_b32_e32 v104, 8, v51
	v_and_or_b32 v51, v51, 15, 0x4b000000
	v_and_or_b32 v103, v103, 15, 0x4b000000
	;; [unrolled: 1-line block ×5, first 2 shown]
	v_add_f32_e32 v51, 0xcb000008, v51
	v_add_f32_e32 v103, 0xcb000008, v103
	v_lshrrev_b32_e32 v49, 4, v52
	v_add_f32_e32 v90, 0xcb000008, v90
	v_add_f32_e32 v104, 0xcb000008, v104
	s_delay_alu instid0(VALU_DEP_4) | instskip(NEXT) | instid1(VALU_DEP_4)
	v_lshrrev_b32_e32 v103, 16, v103
	v_and_or_b32 v49, v49, 15, 0x4b000000
	s_delay_alu instid0(VALU_DEP_4) | instskip(NEXT) | instid1(VALU_DEP_3)
	v_lshrrev_b32_e32 v90, 16, v90
	v_and_or_b32 v124, 0xffff0000, v104, v103
	s_delay_alu instid0(VALU_DEP_3) | instskip(NEXT) | instid1(VALU_DEP_3)
	v_add_f32_e32 v49, 0xcb000008, v49
	v_and_or_b32 v123, 0xffff0000, v51, v90
	v_lshrrev_b32_e32 v51, 12, v52
	s_wait_dscnt 0x0
	v_and_or_b32 v104, v82, 15, 0x4b000000
	v_lshrrev_b32_e32 v49, 16, v49
	s_delay_alu instid0(VALU_DEP_3) | instskip(SKIP_1) | instid1(VALU_DEP_2)
	v_and_or_b32 v51, v51, 15, 0x4b000000
	v_add_f32_e32 v50, 0xcb000008, v50
	v_dual_add_f32 v104, 0xcb000008, v104 :: v_dual_add_f32 v51, 0xcb000008, v51
	s_delay_alu instid0(VALU_DEP_2) | instskip(SKIP_4) | instid1(VALU_DEP_4)
	v_and_or_b32 v122, 0xffff0000, v50, v59
	v_ashrrev_i32_e32 v59, 16, v52
	v_lshrrev_b32_e32 v50, 8, v52
	v_and_or_b32 v52, v52, 15, 0x4b000000
	v_lshrrev_b32_e32 v51, 16, v51
	v_lshrrev_b32_e32 v60, 4, v59
	s_delay_alu instid0(VALU_DEP_4)
	v_and_or_b32 v50, v50, 15, 0x4b000000
	v_lshrrev_b32_e32 v90, 12, v59
	v_lshrrev_b32_e32 v103, 8, v59
	v_and_or_b32 v59, v59, 15, 0x4b000000
	v_and_or_b32 v60, v60, 15, 0x4b000000
	v_add_f32_e32 v52, 0xcb000008, v52
	v_add_f32_e32 v50, 0xcb000008, v50
	v_and_or_b32 v90, v90, 15, 0x4b000000
	v_and_or_b32 v103, v103, 15, 0x4b000000
	v_dual_add_f32 v60, 0xcb000008, v60 :: v_dual_add_f32 v59, 0xcb000008, v59
	v_and_or_b32 v49, 0xffff0000, v52, v49
	s_delay_alu instid0(VALU_DEP_4) | instskip(SKIP_1) | instid1(VALU_DEP_4)
	v_add_f32_e32 v52, 0xcb000008, v90
	v_and_or_b32 v50, 0xffff0000, v50, v51
	v_lshrrev_b32_e32 v60, 16, v60
	v_add_f32_e32 v90, 0xcb000008, v103
	v_lshrrev_b32_e32 v103, 12, v82
	v_lshrrev_b32_e32 v52, 16, v52
	s_delay_alu instid0(VALU_DEP_4)
	v_and_or_b32 v51, 0xffff0000, v59, v60
	v_lshrrev_b32_e32 v59, 4, v82
	v_lshrrev_b32_e32 v60, 8, v82
	v_ashrrev_i32_e32 v82, 16, v82
	v_and_or_b32 v103, v103, 15, 0x4b000000
	v_and_or_b32 v52, 0xffff0000, v90, v52
	;; [unrolled: 1-line block ×4, first 2 shown]
	v_lshrrev_b32_e32 v125, 4, v82
	v_lshrrev_b32_e32 v126, 12, v82
	;; [unrolled: 1-line block ×3, first 2 shown]
	v_add_f32_e32 v59, 0xcb000008, v59
	v_add_f32_e32 v103, 0xcb000008, v103
	v_and_or_b32 v125, v125, 15, 0x4b000000
	v_and_or_b32 v126, v126, 15, 0x4b000000
	;; [unrolled: 1-line block ×4, first 2 shown]
	s_delay_alu instid0(VALU_DEP_4)
	v_dual_add_f32 v60, 0xcb000008, v60 :: v_dual_add_f32 v125, 0xcb000008, v125
	v_lshrrev_b32_e32 v59, 16, v59
	v_add_f32_e32 v126, 0xcb000008, v126
	v_lshrrev_b32_e32 v103, 16, v103
	v_add_f32_e32 v82, 0xcb000008, v82
	v_add_f32_e32 v128, 0xcb000008, v127
	v_lshrrev_b32_e32 v127, 16, v125
	v_lshrrev_b32_e32 v129, 16, v126
	v_and_or_b32 v125, 0xffff0000, v104, v59
	v_and_or_b32 v126, 0xffff0000, v60, v103
	v_lshrrev_b32_e32 v59, 4, v83
	v_and_or_b32 v127, 0xffff0000, v82, v127
	v_lshrrev_b32_e32 v60, 8, v83
	v_lshrrev_b32_e32 v82, 12, v83
	v_and_or_b32 v90, v83, 15, 0x4b000000
	v_ashrrev_i32_e32 v83, 16, v83
	v_and_or_b32 v128, 0xffff0000, v128, v129
	v_and_or_b32 v59, v59, 15, 0x4b000000
	;; [unrolled: 1-line block ×4, first 2 shown]
	v_lshrrev_b32_e32 v103, 4, v83
	v_lshrrev_b32_e32 v104, 12, v83
	;; [unrolled: 1-line block ×3, first 2 shown]
	v_and_or_b32 v83, v83, 15, 0x4b000000
	v_add_f32_e32 v59, 0xcb000008, v59
	v_and_or_b32 v103, v103, 15, 0x4b000000
	v_add_f32_e32 v82, 0xcb000008, v82
	s_delay_alu instid0(VALU_DEP_4) | instskip(NEXT) | instid1(VALU_DEP_3)
	v_dual_add_f32 v90, 0xcb000008, v90 :: v_dual_add_f32 v83, 0xcb000008, v83
	v_dual_add_f32 v60, 0xcb000008, v60 :: v_dual_add_f32 v103, 0xcb000008, v103
	v_and_or_b32 v104, v104, 15, 0x4b000000
	v_lshrrev_b32_e32 v59, 16, v59
	v_and_or_b32 v129, v129, 15, 0x4b000000
	v_lshrrev_b32_e32 v82, 16, v82
	v_lshrrev_b32_e32 v103, 16, v103
	v_add_f32_e32 v104, 0xcb000008, v104
	s_delay_alu instid0(VALU_DEP_4) | instskip(SKIP_1) | instid1(VALU_DEP_4)
	v_add_f32_e32 v132, 0xcb000008, v129
	v_and_or_b32 v129, 0xffff0000, v90, v59
	v_and_or_b32 v131, 0xffff0000, v83, v103
	v_ashrrev_i32_e32 v83, 16, v84
	v_and_or_b32 v130, 0xffff0000, v60, v82
	v_lshrrev_b32_e32 v59, 4, v84
	v_lshrrev_b32_e32 v82, 12, v84
	v_lshrrev_b32_e32 v104, 16, v104
	v_lshrrev_b32_e32 v90, 4, v83
	v_lshrrev_b32_e32 v60, 8, v84
	v_and_or_b32 v59, v59, 15, 0x4b000000
	v_and_or_b32 v82, v82, 15, 0x4b000000
	;; [unrolled: 1-line block ×6, first 2 shown]
	v_dual_add_f32 v59, 0xcb000008, v59 :: v_dual_add_f32 v82, 0xcb000008, v82
	v_lshrrev_b32_e32 v103, 12, v83
	v_lshrrev_b32_e32 v104, 8, v83
	v_and_or_b32 v83, v83, 15, 0x4b000000
	v_add_f32_e32 v90, 0xcb000008, v90
	v_add_f32_e32 v84, 0xcb000008, v84
	;; [unrolled: 1-line block ×3, first 2 shown]
	v_lshrrev_b32_e32 v59, 16, v59
	v_lshrrev_b32_e32 v133, 16, v82
	v_and_or_b32 v103, v103, 15, 0x4b000000
	v_and_or_b32 v104, v104, 15, 0x4b000000
	v_add_f32_e32 v134, 0xcb000008, v83
	v_lshrrev_b32_e32 v90, 16, v90
	v_and_or_b32 v82, 0xffff0000, v84, v59
	v_add_f32_e32 v59, 0xcb000008, v103
	v_and_or_b32 v83, 0xffff0000, v60, v133
	v_add_f32_e32 v60, 0xcb000008, v104
	v_and_or_b32 v84, 0xffff0000, v134, v90
	v_lshrrev_b32_e32 v90, 4, v85
	v_lshrrev_b32_e32 v103, 8, v85
	;; [unrolled: 1-line block ×3, first 2 shown]
	v_and_or_b32 v133, v85, 15, 0x4b000000
	v_ashrrev_i32_e32 v85, 16, v85
	v_and_or_b32 v90, v90, 15, 0x4b000000
	v_and_or_b32 v103, v103, 15, 0x4b000000
	v_and_or_b32 v104, v104, 15, 0x4b000000
	v_lshrrev_b32_e32 v59, 16, v59
	v_lshrrev_b32_e32 v134, 4, v85
	;; [unrolled: 1-line block ×4, first 2 shown]
	v_add_f32_e32 v90, 0xcb000008, v90
	v_add_f32_e32 v104, 0xcb000008, v104
	v_and_or_b32 v134, v134, 15, 0x4b000000
	v_and_or_b32 v135, v135, 15, 0x4b000000
	;; [unrolled: 1-line block ×4, first 2 shown]
	s_delay_alu instid0(VALU_DEP_4) | instskip(NEXT) | instid1(VALU_DEP_4)
	v_dual_add_f32 v133, 0xcb000008, v133 :: v_dual_add_f32 v134, 0xcb000008, v134
	v_add_f32_e32 v135, 0xcb000008, v135
	v_add_f32_e32 v103, 0xcb000008, v103
	v_lshrrev_b32_e32 v90, 16, v90
	v_lshrrev_b32_e32 v104, 16, v104
	v_dual_add_f32 v137, 0xcb000008, v85 :: v_dual_add_f32 v136, 0xcb000008, v136
	v_lshrrev_b32_e32 v138, 16, v134
	v_lshrrev_b32_e32 v139, 16, v135
	v_and_or_b32 v85, 0xffff0000, v60, v59
	v_and_or_b32 v133, 0xffff0000, v133, v90
	;; [unrolled: 1-line block ×5, first 2 shown]
	; sched_barrier mask(0x00000000)
	s_barrier_signal -1
	s_barrier_wait -1
	; sched_barrier mask(0x00000000)
	v_wmma_f32_16x16x16_bf16 v[1:8], v[86:89], v[53:56], v[1:8]
	s_delay_alu instid0(VALU_DEP_1) | instskip(NEXT) | instid1(VALU_DEP_1)
	v_wmma_f32_16x16x16_bf16 v[1:8], v[117:120], v[62:65], v[1:8]
	v_wmma_f32_16x16x16_bf16 v[1:8], v[121:124], v[66:69], v[1:8]
	s_delay_alu instid0(VALU_DEP_1)
	v_wmma_f32_16x16x16_bf16 v[1:8], v[49:52], v[70:73], v[1:8]
	; sched_barrier mask(0x00000000)
	s_setprio 1
	; sched_barrier mask(0x00000000)
	; sched_barrier mask(0x00000000)
	s_wait_dscnt 0x0
	s_barrier_signal -1
	s_barrier_wait -1
	; sched_barrier mask(0x00000000)
	v_wmma_f32_16x16x16_bf16 v[1:8], v[125:128], v[74:77], v[1:8]
	s_delay_alu instid0(VALU_DEP_1) | instskip(NEXT) | instid1(VALU_DEP_1)
	v_wmma_f32_16x16x16_bf16 v[1:8], v[129:132], v[78:81], v[1:8]
	v_wmma_f32_16x16x16_bf16 v[1:8], v[82:85], v[45:48], v[1:8]
	s_delay_alu instid0(VALU_DEP_1)
	v_wmma_f32_16x16x16_bf16 v[1:8], v[133:136], v[41:44], v[1:8]
	; sched_barrier mask(0x00000000)
	s_setprio 0
	; sched_barrier mask(0x00000000)
	v_lshlrev_b32_e32 v41, 1, v61
	v_add_nc_u32_e32 v119, v108, v116
	v_add_nc_u32_e32 v118, v108, v113
	v_add_nc_u32_e64 v123, 4, s7
	s_wait_loadcnt 0x7
	ds_store_b128 v41, v[37:40]
	v_ashrrev_i32_e32 v37, 31, v107
	buffer_load_b128 v[41:44], v118, s[0:3], null offen offset:768
	v_lshrrev_b32_e32 v37, 28, v37
	s_delay_alu instid0(VALU_DEP_1) | instskip(NEXT) | instid1(VALU_DEP_1)
	v_add_nc_u32_e32 v37, v107, v37
	v_and_b32_e32 v37, -16, v37
	s_delay_alu instid0(VALU_DEP_1) | instskip(NEXT) | instid1(VALU_DEP_1)
	v_sub_nc_u32_e32 v37, v107, v37
	v_xor_b32_e32 v122, v37, v105
	s_delay_alu instid0(VALU_DEP_1) | instskip(NEXT) | instid1(VALU_DEP_1)
	v_sub_nc_u32_e32 v37, v122, v110
	v_lshlrev_b32_e32 v37, 3, v37
	s_delay_alu instid0(VALU_DEP_1) | instskip(NEXT) | instid1(VALU_DEP_1)
	v_add3_u32 v37, v61, v111, v37
	v_lshlrev_b32_e32 v121, 1, v37
	s_wait_loadcnt 0x7
	ds_store_b128 v121, v[33:36]
	v_add_nc_u32_e32 v33, -1, v107
	s_delay_alu instid0(VALU_DEP_1) | instskip(NEXT) | instid1(VALU_DEP_1)
	v_ashrrev_i32_e32 v34, 31, v33
	v_lshrrev_b32_e32 v34, 28, v34
	s_delay_alu instid0(VALU_DEP_1) | instskip(NEXT) | instid1(VALU_DEP_1)
	v_add_nc_u32_e32 v34, v33, v34
	v_and_b32_e32 v34, -16, v34
	s_delay_alu instid0(VALU_DEP_1) | instskip(NEXT) | instid1(VALU_DEP_1)
	v_sub_nc_u32_e32 v33, v33, v34
	v_xor_b32_e32 v110, v33, v105
	s_delay_alu instid0(VALU_DEP_1) | instskip(NEXT) | instid1(VALU_DEP_1)
	v_sub_nc_u32_e32 v33, v110, v122
	v_lshlrev_b32_e32 v103, 3, v33
	v_lshrrev_b32_e32 v33, 31, v109
	s_delay_alu instid0(VALU_DEP_2) | instskip(NEXT) | instid1(VALU_DEP_2)
	v_add_nc_u32_e32 v117, 0xffffff80, v103
	v_add_nc_u32_e32 v33, v109, v33
	s_delay_alu instid0(VALU_DEP_2) | instskip(NEXT) | instid1(VALU_DEP_2)
	v_add_nc_u32_e32 v120, v117, v37
	v_ashrrev_i32_e32 v33, 1, v33
	s_wait_loadcnt 0x6
	ds_store_b128 v33, v[29:32] offset:4096
	v_add_nc_u32_e32 v29, v109, v114
	s_delay_alu instid0(VALU_DEP_1) | instskip(SKIP_1) | instid1(VALU_DEP_2)
	v_lshrrev_b32_e32 v30, 31, v29
	v_add_nc_u32_e32 v109, v29, v115
	v_add_nc_u32_e32 v30, v29, v30
	s_delay_alu instid0(VALU_DEP_1)
	v_ashrrev_i32_e32 v104, 1, v30
	s_wait_loadcnt 0x5
	ds_store_b128 v104, v[25:28] offset:4096
	v_add_nc_u32_e32 v25, 0xfffffe00, v119
	buffer_load_b128 v[45:48], v25, s[0:3], null offen
	v_lshrrev_b32_e32 v25, 31, v57
	s_delay_alu instid0(VALU_DEP_1) | instskip(NEXT) | instid1(VALU_DEP_1)
	v_add_nc_u32_e32 v25, v57, v25
	v_ashrrev_i32_e32 v25, 1, v25
	buffer_load_b128 v[49:52], v25, s[8:11], null offen
	v_add_nc_u32_e32 v25, 0x80, v57
	s_delay_alu instid0(VALU_DEP_1) | instskip(NEXT) | instid1(VALU_DEP_1)
	v_lshrrev_b32_e32 v26, 31, v25
	v_add_nc_u32_e32 v25, v25, v26
	s_delay_alu instid0(VALU_DEP_1)
	v_ashrrev_i32_e32 v25, 1, v25
	buffer_load_b128 v[53:56], v25, s[8:11], null offen
	v_sub_nc_u32_e32 v25, v123, v58
	s_wait_dscnt 0x0
	s_barrier_signal -1
	s_barrier_wait -1
	s_delay_alu instid0(VALU_DEP_1)
	v_mad_co_u64_u32 v[89:90], null, v25, s12, v[57:58]
	ds_load_b128 v[69:72], v94
	ds_load_b128 v[65:68], v95
	;; [unrolled: 1-line block ×8, first 2 shown]
	ds_load_b128 v[84:87], v102 offset:4096
	s_wait_dscnt 0x0
	v_lshrrev_b32_e32 v74, 4, v84
	v_lshrrev_b32_e32 v76, 12, v84
	v_and_or_b32 v73, v84, 15, 0x4b000000
	v_lshrrev_b32_e32 v75, 8, v84
	v_lshrrev_b32_e32 v80, 12, v85
	v_and_or_b32 v74, v74, 15, 0x4b000000
	v_and_or_b32 v76, v76, 15, 0x4b000000
	v_add_f32_e32 v73, 0xcb000008, v73
	v_and_or_b32 v75, v75, 15, 0x4b000000
	v_and_or_b32 v80, v80, 15, 0x4b000000
	v_add_f32_e32 v74, 0xcb000008, v74
	v_add_f32_e32 v76, 0xcb000008, v76
	v_lshrrev_b32_e32 v90, 12, v87
	s_delay_alu instid0(VALU_DEP_4) | instskip(NEXT) | instid1(VALU_DEP_4)
	v_dual_add_f32 v75, 0xcb000008, v75 :: v_dual_add_f32 v80, 0xcb000008, v80
	v_lshrrev_b32_e32 v74, 16, v74
	s_delay_alu instid0(VALU_DEP_3) | instskip(NEXT) | instid1(VALU_DEP_2)
	v_and_or_b32 v90, v90, 15, 0x4b000000
	v_and_or_b32 v73, 0xffff0000, v73, v74
	v_lshrrev_b32_e32 v74, 16, v76
	s_delay_alu instid0(VALU_DEP_3) | instskip(NEXT) | instid1(VALU_DEP_2)
	v_add_f32_e32 v90, 0xcb000008, v90
	v_and_or_b32 v74, 0xffff0000, v75, v74
	v_ashrrev_i32_e32 v75, 16, v84
	v_lshrrev_b32_e32 v84, 12, v86
	s_delay_alu instid0(VALU_DEP_2)
	v_lshrrev_b32_e32 v77, 4, v75
	v_and_or_b32 v76, v75, 15, 0x4b000000
	v_lshrrev_b32_e32 v78, 8, v75
	v_lshrrev_b32_e32 v75, 12, v75
	v_and_or_b32 v84, v84, 15, 0x4b000000
	v_and_or_b32 v77, v77, 15, 0x4b000000
	v_add_f32_e32 v76, 0xcb000008, v76
	v_and_or_b32 v78, v78, 15, 0x4b000000
	v_and_or_b32 v75, v75, 15, 0x4b000000
	s_delay_alu instid0(VALU_DEP_4) | instskip(NEXT) | instid1(VALU_DEP_2)
	v_dual_add_f32 v84, 0xcb000008, v84 :: v_dual_add_f32 v77, 0xcb000008, v77
	v_dual_add_f32 v78, 0xcb000008, v78 :: v_dual_add_f32 v79, 0xcb000008, v75
	s_delay_alu instid0(VALU_DEP_2) | instskip(SKIP_1) | instid1(VALU_DEP_2)
	v_lshrrev_b32_e32 v75, 16, v77
	v_and_or_b32 v77, v85, 15, 0x4b000000
	v_and_or_b32 v75, 0xffff0000, v76, v75
	s_delay_alu instid0(VALU_DEP_4) | instskip(SKIP_1) | instid1(VALU_DEP_4)
	v_lshrrev_b32_e32 v76, 16, v79
	v_lshrrev_b32_e32 v79, 8, v85
	v_add_f32_e32 v77, 0xcb000008, v77
	s_delay_alu instid0(VALU_DEP_3) | instskip(SKIP_1) | instid1(VALU_DEP_4)
	v_and_or_b32 v76, 0xffff0000, v78, v76
	v_lshrrev_b32_e32 v78, 4, v85
	v_and_or_b32 v79, v79, 15, 0x4b000000
	s_delay_alu instid0(VALU_DEP_2) | instskip(NEXT) | instid1(VALU_DEP_1)
	v_and_or_b32 v78, v78, 15, 0x4b000000
	v_dual_add_f32 v79, 0xcb000008, v79 :: v_dual_add_f32 v78, 0xcb000008, v78
	s_delay_alu instid0(VALU_DEP_1) | instskip(NEXT) | instid1(VALU_DEP_1)
	v_lshrrev_b32_e32 v78, 16, v78
	v_and_or_b32 v77, 0xffff0000, v77, v78
	v_lshrrev_b32_e32 v78, 16, v80
	s_delay_alu instid0(VALU_DEP_1) | instskip(SKIP_1) | instid1(VALU_DEP_1)
	v_and_or_b32 v78, 0xffff0000, v79, v78
	v_ashrrev_i32_e32 v79, 16, v85
	v_lshrrev_b32_e32 v81, 4, v79
	v_and_or_b32 v80, v79, 15, 0x4b000000
	v_lshrrev_b32_e32 v82, 8, v79
	v_lshrrev_b32_e32 v79, 12, v79
	s_delay_alu instid0(VALU_DEP_4) | instskip(NEXT) | instid1(VALU_DEP_4)
	v_and_or_b32 v81, v81, 15, 0x4b000000
	v_add_f32_e32 v80, 0xcb000008, v80
	s_delay_alu instid0(VALU_DEP_4) | instskip(NEXT) | instid1(VALU_DEP_4)
	v_and_or_b32 v82, v82, 15, 0x4b000000
	v_and_or_b32 v79, v79, 15, 0x4b000000
	s_delay_alu instid0(VALU_DEP_2) | instskip(NEXT) | instid1(VALU_DEP_2)
	v_dual_add_f32 v81, 0xcb000008, v81 :: v_dual_add_f32 v82, 0xcb000008, v82
	v_add_f32_e32 v83, 0xcb000008, v79
	s_delay_alu instid0(VALU_DEP_2) | instskip(SKIP_1) | instid1(VALU_DEP_2)
	v_lshrrev_b32_e32 v79, 16, v81
	v_and_or_b32 v81, v86, 15, 0x4b000000
	v_and_or_b32 v79, 0xffff0000, v80, v79
	s_delay_alu instid0(VALU_DEP_4) | instskip(SKIP_1) | instid1(VALU_DEP_4)
	v_lshrrev_b32_e32 v80, 16, v83
	v_lshrrev_b32_e32 v83, 8, v86
	v_add_f32_e32 v81, 0xcb000008, v81
	s_delay_alu instid0(VALU_DEP_3) | instskip(SKIP_1) | instid1(VALU_DEP_4)
	v_and_or_b32 v80, 0xffff0000, v82, v80
	v_lshrrev_b32_e32 v82, 4, v86
	v_and_or_b32 v83, v83, 15, 0x4b000000
	s_delay_alu instid0(VALU_DEP_2) | instskip(NEXT) | instid1(VALU_DEP_1)
	v_and_or_b32 v82, v82, 15, 0x4b000000
	v_dual_add_f32 v83, 0xcb000008, v83 :: v_dual_add_f32 v82, 0xcb000008, v82
	s_delay_alu instid0(VALU_DEP_1) | instskip(NEXT) | instid1(VALU_DEP_1)
	v_lshrrev_b32_e32 v82, 16, v82
	v_and_or_b32 v81, 0xffff0000, v81, v82
	v_lshrrev_b32_e32 v82, 16, v84
	s_delay_alu instid0(VALU_DEP_1) | instskip(SKIP_1) | instid1(VALU_DEP_1)
	v_and_or_b32 v82, 0xffff0000, v83, v82
	v_ashrrev_i32_e32 v83, 16, v86
	v_lshrrev_b32_e32 v85, 4, v83
	v_and_or_b32 v84, v83, 15, 0x4b000000
	v_lshrrev_b32_e32 v86, 8, v83
	v_lshrrev_b32_e32 v83, 12, v83
	s_delay_alu instid0(VALU_DEP_4) | instskip(NEXT) | instid1(VALU_DEP_4)
	v_and_or_b32 v85, v85, 15, 0x4b000000
	v_add_f32_e32 v84, 0xcb000008, v84
	s_delay_alu instid0(VALU_DEP_4) | instskip(NEXT) | instid1(VALU_DEP_4)
	v_and_or_b32 v86, v86, 15, 0x4b000000
	v_and_or_b32 v83, v83, 15, 0x4b000000
	s_delay_alu instid0(VALU_DEP_2) | instskip(NEXT) | instid1(VALU_DEP_2)
	v_dual_add_f32 v85, 0xcb000008, v85 :: v_dual_add_f32 v86, 0xcb000008, v86
	v_add_f32_e32 v88, 0xcb000008, v83
	s_delay_alu instid0(VALU_DEP_2) | instskip(SKIP_1) | instid1(VALU_DEP_2)
	v_lshrrev_b32_e32 v83, 16, v85
	v_and_or_b32 v85, v87, 15, 0x4b000000
	v_and_or_b32 v83, 0xffff0000, v84, v83
	s_delay_alu instid0(VALU_DEP_4) | instskip(SKIP_1) | instid1(VALU_DEP_4)
	v_lshrrev_b32_e32 v84, 16, v88
	v_lshrrev_b32_e32 v88, 8, v87
	v_add_f32_e32 v85, 0xcb000008, v85
	s_delay_alu instid0(VALU_DEP_3) | instskip(SKIP_1) | instid1(VALU_DEP_4)
	v_and_or_b32 v84, 0xffff0000, v86, v84
	v_lshrrev_b32_e32 v86, 4, v87
	v_and_or_b32 v88, v88, 15, 0x4b000000
	v_ashrrev_i32_e32 v87, 16, v87
	s_delay_alu instid0(VALU_DEP_3) | instskip(NEXT) | instid1(VALU_DEP_3)
	v_and_or_b32 v86, v86, 15, 0x4b000000
	v_add_f32_e32 v88, 0xcb000008, v88
	s_delay_alu instid0(VALU_DEP_3) | instskip(NEXT) | instid1(VALU_DEP_3)
	v_lshrrev_b32_e32 v124, 8, v87
	v_add_f32_e32 v86, 0xcb000008, v86
	s_delay_alu instid0(VALU_DEP_2) | instskip(NEXT) | instid1(VALU_DEP_2)
	v_and_or_b32 v124, v124, 15, 0x4b000000
	v_lshrrev_b32_e32 v86, 16, v86
	s_delay_alu instid0(VALU_DEP_2) | instskip(NEXT) | instid1(VALU_DEP_2)
	v_add_f32_e32 v124, 0xcb000008, v124
	v_and_or_b32 v85, 0xffff0000, v85, v86
	v_lshrrev_b32_e32 v86, 16, v90
	v_lshrrev_b32_e32 v90, 4, v87
	s_delay_alu instid0(VALU_DEP_2) | instskip(SKIP_1) | instid1(VALU_DEP_3)
	v_and_or_b32 v86, 0xffff0000, v88, v86
	v_and_or_b32 v88, v87, 15, 0x4b000000
	;; [unrolled: 1-line block ×3, first 2 shown]
	v_lshrrev_b32_e32 v87, 12, v87
	s_delay_alu instid0(VALU_DEP_3) | instskip(NEXT) | instid1(VALU_DEP_3)
	v_add_f32_e32 v88, 0xcb000008, v88
	v_add_f32_e32 v90, 0xcb000008, v90
	s_delay_alu instid0(VALU_DEP_3) | instskip(NEXT) | instid1(VALU_DEP_1)
	v_and_or_b32 v87, v87, 15, 0x4b000000
	v_add_f32_e32 v125, 0xcb000008, v87
	s_delay_alu instid0(VALU_DEP_3) | instskip(NEXT) | instid1(VALU_DEP_1)
	v_lshrrev_b32_e32 v87, 16, v90
	v_and_or_b32 v87, 0xffff0000, v88, v87
	s_delay_alu instid0(VALU_DEP_3) | instskip(NEXT) | instid1(VALU_DEP_1)
	v_lshrrev_b32_e32 v88, 16, v125
	v_and_or_b32 v88, 0xffff0000, v124, v88
	ds_load_b128 v[124:127], v93 offset:4096
	s_wait_dscnt 0x0
	v_lshrrev_b32_e32 v128, 4, v124
	v_lshrrev_b32_e32 v129, 8, v124
	;; [unrolled: 1-line block ×3, first 2 shown]
	v_and_or_b32 v90, v124, 15, 0x4b000000
	v_lshrrev_b32_e32 v133, 12, v125
	v_and_or_b32 v128, v128, 15, 0x4b000000
	v_and_or_b32 v129, v129, 15, 0x4b000000
	;; [unrolled: 1-line block ×3, first 2 shown]
	v_add_f32_e32 v90, 0xcb000008, v90
	v_and_or_b32 v133, v133, 15, 0x4b000000
	s_delay_alu instid0(VALU_DEP_4) | instskip(NEXT) | instid1(VALU_DEP_4)
	v_dual_add_f32 v128, 0xcb000008, v128 :: v_dual_add_f32 v129, 0xcb000008, v129
	v_add_f32_e32 v130, 0xcb000008, v130
	v_lshrrev_b32_e32 v132, 8, v125
	s_delay_alu instid0(VALU_DEP_4) | instskip(NEXT) | instid1(VALU_DEP_4)
	v_add_f32_e32 v133, 0xcb000008, v133
	v_lshrrev_b32_e32 v128, 16, v128
	v_lshrrev_b32_e32 v136, 12, v126
	s_delay_alu instid0(VALU_DEP_4) | instskip(NEXT) | instid1(VALU_DEP_3)
	v_and_or_b32 v132, v132, 15, 0x4b000000
	v_and_or_b32 v128, 0xffff0000, v90, v128
	v_lshrrev_b32_e32 v90, 16, v130
	s_delay_alu instid0(VALU_DEP_4) | instskip(NEXT) | instid1(VALU_DEP_4)
	v_and_or_b32 v136, v136, 15, 0x4b000000
	v_add_f32_e32 v134, 0xcb000008, v132
	s_delay_alu instid0(VALU_DEP_3) | instskip(SKIP_1) | instid1(VALU_DEP_4)
	v_and_or_b32 v129, 0xffff0000, v129, v90
	v_ashrrev_i32_e32 v90, 16, v124
	v_add_f32_e32 v137, 0xcb000008, v136
	s_delay_alu instid0(VALU_DEP_2) | instskip(SKIP_3) | instid1(VALU_DEP_4)
	v_lshrrev_b32_e32 v130, 4, v90
	v_and_or_b32 v124, v90, 15, 0x4b000000
	v_lshrrev_b32_e32 v131, 8, v90
	v_lshrrev_b32_e32 v90, 12, v90
	v_and_or_b32 v130, v130, 15, 0x4b000000
	s_delay_alu instid0(VALU_DEP_3) | instskip(NEXT) | instid1(VALU_DEP_3)
	v_and_or_b32 v131, v131, 15, 0x4b000000
	v_and_or_b32 v90, v90, 15, 0x4b000000
	v_add_f32_e32 v124, 0xcb000008, v124
	s_delay_alu instid0(VALU_DEP_3) | instskip(NEXT) | instid1(VALU_DEP_3)
	v_dual_add_f32 v130, 0xcb000008, v130 :: v_dual_add_f32 v131, 0xcb000008, v131
	v_add_f32_e32 v90, 0xcb000008, v90
	s_delay_alu instid0(VALU_DEP_2) | instskip(NEXT) | instid1(VALU_DEP_2)
	v_lshrrev_b32_e32 v130, 16, v130
	v_lshrrev_b32_e32 v90, 16, v90
	s_delay_alu instid0(VALU_DEP_2) | instskip(SKIP_1) | instid1(VALU_DEP_3)
	v_and_or_b32 v130, 0xffff0000, v124, v130
	v_lshrrev_b32_e32 v124, 4, v125
	v_and_or_b32 v131, 0xffff0000, v131, v90
	v_and_or_b32 v90, v125, 15, 0x4b000000
	s_delay_alu instid0(VALU_DEP_3) | instskip(NEXT) | instid1(VALU_DEP_2)
	v_and_or_b32 v124, v124, 15, 0x4b000000
	v_add_f32_e32 v90, 0xcb000008, v90
	s_delay_alu instid0(VALU_DEP_2) | instskip(NEXT) | instid1(VALU_DEP_1)
	v_add_f32_e32 v124, 0xcb000008, v124
	v_lshrrev_b32_e32 v124, 16, v124
	s_delay_alu instid0(VALU_DEP_1) | instskip(SKIP_1) | instid1(VALU_DEP_1)
	v_and_or_b32 v132, 0xffff0000, v90, v124
	v_lshrrev_b32_e32 v90, 16, v133
	v_and_or_b32 v133, 0xffff0000, v134, v90
	v_ashrrev_i32_e32 v90, 16, v125
	s_delay_alu instid0(VALU_DEP_1) | instskip(SKIP_3) | instid1(VALU_DEP_4)
	v_lshrrev_b32_e32 v125, 4, v90
	v_and_or_b32 v124, v90, 15, 0x4b000000
	v_lshrrev_b32_e32 v134, 8, v90
	v_lshrrev_b32_e32 v90, 12, v90
	v_and_or_b32 v125, v125, 15, 0x4b000000
	s_delay_alu instid0(VALU_DEP_4) | instskip(NEXT) | instid1(VALU_DEP_4)
	v_add_f32_e32 v124, 0xcb000008, v124
	v_and_or_b32 v134, v134, 15, 0x4b000000
	s_delay_alu instid0(VALU_DEP_4) | instskip(NEXT) | instid1(VALU_DEP_4)
	v_and_or_b32 v90, v90, 15, 0x4b000000
	v_add_f32_e32 v125, 0xcb000008, v125
	s_delay_alu instid0(VALU_DEP_3) | instskip(NEXT) | instid1(VALU_DEP_3)
	v_add_f32_e32 v135, 0xcb000008, v134
	v_add_f32_e32 v90, 0xcb000008, v90
	s_delay_alu instid0(VALU_DEP_3) | instskip(NEXT) | instid1(VALU_DEP_2)
	v_lshrrev_b32_e32 v125, 16, v125
	v_lshrrev_b32_e32 v90, 16, v90
	s_delay_alu instid0(VALU_DEP_2) | instskip(SKIP_2) | instid1(VALU_DEP_4)
	v_and_or_b32 v134, 0xffff0000, v124, v125
	v_lshrrev_b32_e32 v124, 4, v126
	v_lshrrev_b32_e32 v125, 8, v126
	v_and_or_b32 v135, 0xffff0000, v135, v90
	v_and_or_b32 v90, v126, 15, 0x4b000000
	s_delay_alu instid0(VALU_DEP_4) | instskip(NEXT) | instid1(VALU_DEP_4)
	v_and_or_b32 v124, v124, 15, 0x4b000000
	v_and_or_b32 v125, v125, 15, 0x4b000000
	s_delay_alu instid0(VALU_DEP_3) | instskip(NEXT) | instid1(VALU_DEP_2)
	v_add_f32_e32 v90, 0xcb000008, v90
	v_dual_add_f32 v124, 0xcb000008, v124 :: v_dual_add_f32 v125, 0xcb000008, v125
	s_delay_alu instid0(VALU_DEP_1) | instskip(NEXT) | instid1(VALU_DEP_1)
	v_lshrrev_b32_e32 v124, 16, v124
	v_and_or_b32 v136, 0xffff0000, v90, v124
	v_lshrrev_b32_e32 v90, 16, v137
	s_delay_alu instid0(VALU_DEP_1) | instskip(SKIP_1) | instid1(VALU_DEP_1)
	v_and_or_b32 v137, 0xffff0000, v125, v90
	v_ashrrev_i32_e32 v90, 16, v126
	v_lshrrev_b32_e32 v125, 4, v90
	v_and_or_b32 v124, v90, 15, 0x4b000000
	v_lshrrev_b32_e32 v126, 8, v90
	v_lshrrev_b32_e32 v90, 12, v90
	s_delay_alu instid0(VALU_DEP_4) | instskip(NEXT) | instid1(VALU_DEP_4)
	v_and_or_b32 v125, v125, 15, 0x4b000000
	v_add_f32_e32 v124, 0xcb000008, v124
	s_delay_alu instid0(VALU_DEP_4) | instskip(NEXT) | instid1(VALU_DEP_4)
	v_and_or_b32 v126, v126, 15, 0x4b000000
	v_and_or_b32 v90, v90, 15, 0x4b000000
	s_delay_alu instid0(VALU_DEP_2) | instskip(NEXT) | instid1(VALU_DEP_2)
	v_dual_add_f32 v125, 0xcb000008, v125 :: v_dual_add_f32 v126, 0xcb000008, v126
	v_add_f32_e32 v90, 0xcb000008, v90
	s_delay_alu instid0(VALU_DEP_2) | instskip(NEXT) | instid1(VALU_DEP_2)
	v_lshrrev_b32_e32 v125, 16, v125
	v_lshrrev_b32_e32 v90, 16, v90
	s_delay_alu instid0(VALU_DEP_2) | instskip(SKIP_2) | instid1(VALU_DEP_4)
	v_and_or_b32 v138, 0xffff0000, v124, v125
	v_lshrrev_b32_e32 v124, 4, v127
	v_lshrrev_b32_e32 v125, 8, v127
	v_and_or_b32 v139, 0xffff0000, v126, v90
	v_lshrrev_b32_e32 v126, 12, v127
	v_and_or_b32 v90, v127, 15, 0x4b000000
	v_and_or_b32 v124, v124, 15, 0x4b000000
	;; [unrolled: 1-line block ×3, first 2 shown]
	s_delay_alu instid0(VALU_DEP_4) | instskip(NEXT) | instid1(VALU_DEP_4)
	v_and_or_b32 v126, v126, 15, 0x4b000000
	v_add_f32_e32 v90, 0xcb000008, v90
	s_delay_alu instid0(VALU_DEP_3) | instskip(NEXT) | instid1(VALU_DEP_3)
	v_dual_add_f32 v124, 0xcb000008, v124 :: v_dual_add_f32 v125, 0xcb000008, v125
	v_add_f32_e32 v126, 0xcb000008, v126
	s_delay_alu instid0(VALU_DEP_2) | instskip(NEXT) | instid1(VALU_DEP_1)
	v_lshrrev_b32_e32 v124, 16, v124
	v_and_or_b32 v124, 0xffff0000, v90, v124
	s_delay_alu instid0(VALU_DEP_3) | instskip(NEXT) | instid1(VALU_DEP_1)
	v_lshrrev_b32_e32 v90, 16, v126
	v_and_or_b32 v125, 0xffff0000, v125, v90
	v_ashrrev_i32_e32 v90, 16, v127
	s_delay_alu instid0(VALU_DEP_1) | instskip(SKIP_3) | instid1(VALU_DEP_4)
	v_and_or_b32 v126, v90, 15, 0x4b000000
	v_lshrrev_b32_e32 v127, 4, v90
	v_lshrrev_b32_e32 v140, 8, v90
	;; [unrolled: 1-line block ×3, first 2 shown]
	v_add_f32_e32 v126, 0xcb000008, v126
	s_delay_alu instid0(VALU_DEP_4) | instskip(NEXT) | instid1(VALU_DEP_4)
	v_and_or_b32 v127, v127, 15, 0x4b000000
	v_and_or_b32 v140, v140, 15, 0x4b000000
	s_delay_alu instid0(VALU_DEP_4) | instskip(NEXT) | instid1(VALU_DEP_2)
	v_and_or_b32 v90, v90, 15, 0x4b000000
	v_dual_add_f32 v127, 0xcb000008, v127 :: v_dual_add_f32 v140, 0xcb000008, v140
	s_delay_alu instid0(VALU_DEP_2) | instskip(NEXT) | instid1(VALU_DEP_2)
	v_add_f32_e32 v90, 0xcb000008, v90
	v_lshrrev_b32_e32 v127, 16, v127
	s_delay_alu instid0(VALU_DEP_2) | instskip(NEXT) | instid1(VALU_DEP_2)
	v_lshrrev_b32_e32 v90, 16, v90
	v_and_or_b32 v126, 0xffff0000, v126, v127
	s_delay_alu instid0(VALU_DEP_2) | instskip(SKIP_3) | instid1(VALU_DEP_1)
	v_and_or_b32 v127, 0xffff0000, v140, v90
	; sched_barrier mask(0x00000000)
	s_barrier_signal -1
	s_barrier_wait -1
	; sched_barrier mask(0x00000000)
	v_wmma_f32_16x16x16_bf16 v[1:8], v[73:76], v[69:72], v[1:8]
	v_wmma_f32_16x16x16_bf16 v[1:8], v[77:80], v[65:68], v[1:8]
	s_delay_alu instid0(VALU_DEP_1) | instskip(NEXT) | instid1(VALU_DEP_1)
	v_wmma_f32_16x16x16_bf16 v[1:8], v[81:84], v[61:64], v[1:8]
	v_wmma_f32_16x16x16_bf16 v[1:8], v[85:88], v[57:60], v[1:8]
	; sched_barrier mask(0x00000000)
	s_setprio 1
	; sched_barrier mask(0x00000000)
	; sched_barrier mask(0x00000000)
	s_wait_dscnt 0x0
	s_barrier_signal -1
	s_barrier_wait -1
	; sched_barrier mask(0x00000000)
	v_wmma_f32_16x16x16_bf16 v[1:8], v[128:131], v[37:40], v[1:8]
	s_delay_alu instid0(VALU_DEP_1) | instskip(NEXT) | instid1(VALU_DEP_1)
	v_wmma_f32_16x16x16_bf16 v[1:8], v[132:135], v[33:36], v[1:8]
	v_wmma_f32_16x16x16_bf16 v[1:8], v[136:139], v[29:32], v[1:8]
	s_delay_alu instid0(VALU_DEP_1)
	v_wmma_f32_16x16x16_bf16 v[1:8], v[124:127], v[25:28], v[1:8]
	; sched_barrier mask(0x00000000)
	s_setprio 0
	; sched_barrier mask(0x00000000)
	v_add_nc_u32_e32 v25, 0x80, v89
	v_lshrrev_b32_e32 v26, 31, v89
	v_sub_nc_u32_e32 v57, v122, v110
	v_lshlrev_b32_e32 v61, 1, v117
	v_add_nc_u32_e64 v65, 5, s7
	v_lshrrev_b32_e32 v27, 31, v25
	v_add_nc_u32_e32 v26, v89, v26
	v_lshlrev_b32_e32 v60, 3, v57
	v_lshrrev_b32_e32 v57, 31, v109
	v_add_nc_u32_e32 v58, v121, v61
	v_add_nc_u32_e32 v25, v25, v27
	;; [unrolled: 1-line block ×3, first 2 shown]
	v_ashrrev_i32_e32 v26, 1, v26
	v_add_nc_u32_e32 v63, 0x80, v60
	v_add_nc_u32_e32 v57, v109, v57
	v_ashrrev_i32_e32 v25, 1, v25
	s_clause 0x1
	buffer_load_b128 v[37:40], v118, s[0:3], null offen offset:1024
	buffer_load_b128 v[33:36], v27, s[0:3], null offen
	s_clause 0x1
	buffer_load_b128 v[29:32], v26, s[8:11], null offen
	buffer_load_b128 v[25:28], v25, s[8:11], null offen
	v_lshlrev_b32_e32 v62, 1, v63
	v_ashrrev_i32_e32 v59, 1, v57
	v_add3_u32 v66, v120, v63, v117
	s_delay_alu instid0(VALU_DEP_3)
	v_add_nc_u32_e32 v64, v58, v62
	s_wait_loadcnt 0xb
	ds_store_b128 v58, v[9:12]
	s_wait_loadcnt 0xa
	ds_store_b128 v64, v[13:16]
	s_wait_loadcnt 0x9
	ds_store_b128 v59, v[21:24] offset:4096
	s_wait_loadcnt 0x8
	ds_store_b128 v104, v[17:20] offset:4096
	s_wait_dscnt 0x0
	s_barrier_signal -1
	s_barrier_wait -1
	ds_load_b128 v[9:12], v102 offset:4096
	v_sub_nc_u32_e32 v13, v65, v123
	s_delay_alu instid0(VALU_DEP_1)
	v_mad_co_u64_u32 v[57:58], null, v13, s12, v[89:90]
	ds_load_b128 v[13:16], v94
	ds_load_b128 v[17:20], v95
	;; [unrolled: 1-line block ×6, first 2 shown]
	ds_load_b128 v[79:82], v93 offset:4096
	ds_load_b128 v[83:86], v100
	ds_load_b128 v[87:90], v101
	s_wait_dscnt 0x9
	v_lshrrev_b32_e32 v58, 4, v9
	v_lshrrev_b32_e32 v120, 8, v9
	;; [unrolled: 1-line block ×3, first 2 shown]
	v_ashrrev_i32_e32 v122, 16, v9
	v_and_or_b32 v9, v9, 15, 0x4b000000
	v_and_or_b32 v58, v58, 15, 0x4b000000
	;; [unrolled: 1-line block ×4, first 2 shown]
	v_lshrrev_b32_e32 v123, 4, v122
	v_lshrrev_b32_e32 v125, 8, v122
	v_add_f32_e32 v58, 0xcb000008, v58
	v_add_f32_e32 v124, 0xcb000008, v120
	;; [unrolled: 1-line block ×3, first 2 shown]
	v_and_or_b32 v121, v123, 15, 0x4b000000
	v_lshrrev_b32_e32 v123, 12, v122
	v_add_f32_e32 v9, 0xcb000008, v9
	v_lshrrev_b32_e32 v58, 16, v58
	v_lshrrev_b32_e32 v126, 16, v120
	v_add_f32_e32 v121, 0xcb000008, v121
	v_and_or_b32 v123, v123, 15, 0x4b000000
	v_and_or_b32 v125, v125, 15, 0x4b000000
	;; [unrolled: 1-line block ×4, first 2 shown]
	v_lshrrev_b32_e32 v127, 16, v121
	v_add_f32_e32 v9, 0xcb000008, v123
	v_and_or_b32 v121, 0xffff0000, v124, v126
	v_add_f32_e32 v58, 0xcb000008, v125
	v_lshrrev_b32_e32 v123, 4, v10
	v_lshrrev_b32_e32 v124, 8, v10
	;; [unrolled: 1-line block ×3, first 2 shown]
	v_add_f32_e32 v122, 0xcb000008, v122
	v_and_or_b32 v126, v10, 15, 0x4b000000
	v_and_or_b32 v123, v123, 15, 0x4b000000
	v_ashrrev_i32_e32 v10, 16, v10
	v_and_or_b32 v124, v124, 15, 0x4b000000
	v_and_or_b32 v125, v125, 15, 0x4b000000
	;; [unrolled: 1-line block ×3, first 2 shown]
	v_add_f32_e32 v123, 0xcb000008, v123
	v_lshrrev_b32_e32 v127, 4, v10
	v_lshrrev_b32_e32 v128, 12, v10
	v_dual_add_f32 v129, 0xcb000008, v124 :: v_dual_add_f32 v124, 0xcb000008, v125
	v_lshrrev_b32_e32 v125, 8, v10
	v_lshrrev_b32_e32 v9, 16, v9
	v_and_or_b32 v127, v127, 15, 0x4b000000
	v_and_or_b32 v128, v128, 15, 0x4b000000
	v_lshrrev_b32_e32 v130, 16, v123
	v_and_or_b32 v123, v125, 15, 0x4b000000
	v_add_f32_e32 v126, 0xcb000008, v126
	v_and_or_b32 v10, v10, 15, 0x4b000000
	v_add_f32_e32 v125, 0xcb000008, v127
	v_add_f32_e32 v127, 0xcb000008, v128
	;; [unrolled: 1-line block ×3, first 2 shown]
	v_and_or_b32 v123, 0xffff0000, v58, v9
	v_lshrrev_b32_e32 v9, 4, v11
	v_lshrrev_b32_e32 v128, 16, v124
	;; [unrolled: 1-line block ×3, first 2 shown]
	v_and_or_b32 v124, 0xffff0000, v126, v130
	v_lshrrev_b32_e32 v58, 12, v11
	v_and_or_b32 v9, v9, 15, 0x4b000000
	v_add_f32_e32 v10, 0xcb000008, v10
	v_and_or_b32 v125, 0xffff0000, v129, v128
	v_and_or_b32 v128, v11, 15, 0x4b000000
	v_lshrrev_b32_e32 v127, 16, v127
	v_add_f32_e32 v9, 0xcb000008, v9
	v_and_or_b32 v126, 0xffff0000, v10, v132
	v_lshrrev_b32_e32 v10, 8, v11
	v_ashrrev_i32_e32 v11, 16, v11
	v_and_or_b32 v58, v58, 15, 0x4b000000
	v_lshrrev_b32_e32 v9, 16, v9
	v_and_or_b32 v127, 0xffff0000, v131, v127
	v_and_or_b32 v10, v10, 15, 0x4b000000
	v_lshrrev_b32_e32 v129, 4, v11
	v_lshrrev_b32_e32 v130, 12, v11
	;; [unrolled: 1-line block ×3, first 2 shown]
	v_and_or_b32 v11, v11, 15, 0x4b000000
	s_wait_dscnt 0x2
	v_and_or_b32 v135, v79, 15, 0x4b000000
	v_and_or_b32 v129, v129, 15, 0x4b000000
	v_add_f32_e32 v128, 0xcb000008, v128
	v_and_or_b32 v130, v130, 15, 0x4b000000
	v_and_or_b32 v131, v131, 15, 0x4b000000
	s_delay_alu instid0(VALU_DEP_4) | instskip(NEXT) | instid1(VALU_DEP_4)
	v_dual_add_f32 v10, 0xcb000008, v10 :: v_dual_add_f32 v129, 0xcb000008, v129
	v_and_or_b32 v128, 0xffff0000, v128, v9
	v_lshrrev_b32_e32 v9, 4, v12
	v_dual_add_f32 v130, 0xcb000008, v130 :: v_dual_add_f32 v11, 0xcb000008, v11
	s_delay_alu instid0(VALU_DEP_4) | instskip(SKIP_1) | instid1(VALU_DEP_4)
	v_lshrrev_b32_e32 v132, 16, v129
	v_add_f32_e32 v131, 0xcb000008, v131
	v_and_or_b32 v9, v9, 15, 0x4b000000
	v_add_f32_e32 v58, 0xcb000008, v58
	v_lshrrev_b32_e32 v133, 16, v130
	v_and_or_b32 v130, 0xffff0000, v11, v132
	v_lshrrev_b32_e32 v11, 12, v12
	v_add_f32_e32 v9, 0xcb000008, v9
	v_lshrrev_b32_e32 v58, 16, v58
	v_and_or_b32 v131, 0xffff0000, v131, v133
	v_add_f32_e32 v135, 0xcb000008, v135
	v_and_or_b32 v11, v11, 15, 0x4b000000
	v_lshrrev_b32_e32 v9, 16, v9
	v_and_or_b32 v129, 0xffff0000, v10, v58
	v_ashrrev_i32_e32 v58, 16, v12
	v_lshrrev_b32_e32 v10, 8, v12
	v_and_or_b32 v12, v12, 15, 0x4b000000
	v_add_f32_e32 v11, 0xcb000008, v11
	s_delay_alu instid0(VALU_DEP_4) | instskip(NEXT) | instid1(VALU_DEP_4)
	v_lshrrev_b32_e32 v132, 4, v58
	v_and_or_b32 v10, v10, 15, 0x4b000000
	v_lshrrev_b32_e32 v133, 12, v58
	v_lshrrev_b32_e32 v134, 8, v58
	v_and_or_b32 v58, v58, 15, 0x4b000000
	v_and_or_b32 v132, v132, 15, 0x4b000000
	v_add_f32_e32 v10, 0xcb000008, v10
	v_lshrrev_b32_e32 v11, 16, v11
	v_and_or_b32 v133, v133, 15, 0x4b000000
	v_and_or_b32 v134, v134, 15, 0x4b000000
	v_add_f32_e32 v132, 0xcb000008, v132
	v_add_f32_e32 v12, 0xcb000008, v12
	;; [unrolled: 1-line block ×3, first 2 shown]
	v_and_or_b32 v10, 0xffff0000, v10, v11
	s_delay_alu instid0(VALU_DEP_4) | instskip(NEXT) | instid1(VALU_DEP_4)
	v_lshrrev_b32_e32 v132, 16, v132
	v_and_or_b32 v9, 0xffff0000, v12, v9
	v_dual_add_f32 v12, 0xcb000008, v133 :: v_dual_add_f32 v133, 0xcb000008, v134
	v_lshrrev_b32_e32 v134, 12, v79
	s_delay_alu instid0(VALU_DEP_4) | instskip(SKIP_4) | instid1(VALU_DEP_4)
	v_and_or_b32 v11, 0xffff0000, v58, v132
	v_lshrrev_b32_e32 v58, 4, v79
	v_lshrrev_b32_e32 v132, 8, v79
	v_ashrrev_i32_e32 v79, 16, v79
	v_and_or_b32 v134, v134, 15, 0x4b000000
	v_and_or_b32 v58, v58, 15, 0x4b000000
	s_delay_alu instid0(VALU_DEP_4) | instskip(NEXT) | instid1(VALU_DEP_4)
	v_and_or_b32 v132, v132, 15, 0x4b000000
	v_lshrrev_b32_e32 v136, 4, v79
	v_lshrrev_b32_e32 v137, 12, v79
	s_delay_alu instid0(VALU_DEP_3)
	v_add_f32_e32 v138, 0xcb000008, v132
	v_add_f32_e32 v132, 0xcb000008, v134
	v_lshrrev_b32_e32 v134, 8, v79
	v_and_or_b32 v136, v136, 15, 0x4b000000
	v_and_or_b32 v137, v137, 15, 0x4b000000
	;; [unrolled: 1-line block ×3, first 2 shown]
	v_lshrrev_b32_e32 v139, 16, v132
	v_and_or_b32 v134, v134, 15, 0x4b000000
	s_delay_alu instid0(VALU_DEP_4) | instskip(NEXT) | instid1(VALU_DEP_2)
	v_dual_add_f32 v136, 0xcb000008, v136 :: v_dual_add_f32 v137, 0xcb000008, v137
	v_dual_add_f32 v79, 0xcb000008, v79 :: v_dual_add_f32 v140, 0xcb000008, v134
	s_delay_alu instid0(VALU_DEP_2) | instskip(NEXT) | instid1(VALU_DEP_3)
	v_lshrrev_b32_e32 v134, 16, v136
	v_lshrrev_b32_e32 v136, 16, v137
	v_and_or_b32 v137, v80, 15, 0x4b000000
	v_add_f32_e32 v58, 0xcb000008, v58
	s_delay_alu instid0(VALU_DEP_4) | instskip(SKIP_1) | instid1(VALU_DEP_4)
	v_and_or_b32 v134, 0xffff0000, v79, v134
	v_lshrrev_b32_e32 v79, 8, v80
	v_add_f32_e32 v137, 0xcb000008, v137
	s_delay_alu instid0(VALU_DEP_4) | instskip(NEXT) | instid1(VALU_DEP_3)
	v_lshrrev_b32_e32 v58, 16, v58
	v_and_or_b32 v79, v79, 15, 0x4b000000
	s_delay_alu instid0(VALU_DEP_2)
	v_and_or_b32 v132, 0xffff0000, v135, v58
	v_and_or_b32 v135, 0xffff0000, v140, v136
	v_lshrrev_b32_e32 v58, 4, v80
	v_lshrrev_b32_e32 v136, 12, v80
	v_ashrrev_i32_e32 v80, 16, v80
	v_add_f32_e32 v79, 0xcb000008, v79
	v_lshrrev_b32_e32 v12, 16, v12
	v_and_or_b32 v58, v58, 15, 0x4b000000
	v_and_or_b32 v136, v136, 15, 0x4b000000
	v_lshrrev_b32_e32 v140, 8, v80
	s_delay_alu instid0(VALU_DEP_4)
	v_and_or_b32 v12, 0xffff0000, v133, v12
	v_and_or_b32 v133, 0xffff0000, v138, v139
	v_lshrrev_b32_e32 v138, 4, v80
	v_lshrrev_b32_e32 v139, 12, v80
	v_add_f32_e32 v58, 0xcb000008, v58
	v_add_f32_e32 v136, 0xcb000008, v136
	v_and_or_b32 v80, v80, 15, 0x4b000000
	v_and_or_b32 v138, v138, 15, 0x4b000000
	;; [unrolled: 1-line block ×4, first 2 shown]
	v_lshrrev_b32_e32 v58, 16, v58
	v_lshrrev_b32_e32 v141, 16, v136
	s_delay_alu instid0(VALU_DEP_4) | instskip(SKIP_3) | instid1(VALU_DEP_4)
	v_dual_add_f32 v138, 0xcb000008, v138 :: v_dual_add_f32 v139, 0xcb000008, v139
	v_add_f32_e32 v80, 0xcb000008, v80
	v_add_f32_e32 v140, 0xcb000008, v140
	v_and_or_b32 v136, 0xffff0000, v137, v58
	v_lshrrev_b32_e32 v138, 16, v138
	v_lshrrev_b32_e32 v139, 16, v139
	v_and_or_b32 v137, 0xffff0000, v79, v141
	v_lshrrev_b32_e32 v79, 8, v81
	v_lshrrev_b32_e32 v58, 4, v81
	v_and_or_b32 v138, 0xffff0000, v80, v138
	v_and_or_b32 v139, 0xffff0000, v140, v139
	v_lshrrev_b32_e32 v80, 12, v81
	v_ashrrev_i32_e32 v140, 16, v81
	v_and_or_b32 v79, v79, 15, 0x4b000000
	v_and_or_b32 v58, v58, 15, 0x4b000000
	;; [unrolled: 1-line block ×4, first 2 shown]
	v_lshrrev_b32_e32 v141, 4, v140
	v_add_f32_e32 v142, 0xcb000008, v79
	v_add_f32_e32 v58, 0xcb000008, v58
	v_lshrrev_b32_e32 v143, 8, v140
	v_add_f32_e32 v79, 0xcb000008, v80
	v_and_or_b32 v80, v141, 15, 0x4b000000
	v_lshrrev_b32_e32 v141, 12, v140
	v_and_or_b32 v140, v140, 15, 0x4b000000
	v_add_f32_e32 v81, 0xcb000008, v81
	v_lshrrev_b32_e32 v58, 16, v58
	v_add_f32_e32 v80, 0xcb000008, v80
	v_lshrrev_b32_e32 v144, 16, v79
	v_and_or_b32 v141, v141, 15, 0x4b000000
	v_and_or_b32 v143, v143, 15, 0x4b000000
	v_add_f32_e32 v140, 0xcb000008, v140
	v_lshrrev_b32_e32 v145, 16, v80
	v_and_or_b32 v79, 0xffff0000, v81, v58
	v_add_f32_e32 v58, 0xcb000008, v141
	v_and_or_b32 v80, 0xffff0000, v142, v144
	v_add_f32_e32 v141, 0xcb000008, v143
	v_and_or_b32 v81, 0xffff0000, v140, v145
	v_lshrrev_b32_e32 v140, 4, v82
	v_lshrrev_b32_e32 v142, 8, v82
	;; [unrolled: 1-line block ×3, first 2 shown]
	v_and_or_b32 v144, v82, 15, 0x4b000000
	v_ashrrev_i32_e32 v82, 16, v82
	v_and_or_b32 v140, v140, 15, 0x4b000000
	v_and_or_b32 v142, v142, 15, 0x4b000000
	;; [unrolled: 1-line block ×3, first 2 shown]
	v_lshrrev_b32_e32 v58, 16, v58
	v_lshrrev_b32_e32 v145, 4, v82
	;; [unrolled: 1-line block ×4, first 2 shown]
	v_dual_add_f32 v140, 0xcb000008, v140 :: v_dual_add_f32 v143, 0xcb000008, v143
	s_delay_alu instid0(VALU_DEP_4) | instskip(NEXT) | instid1(VALU_DEP_4)
	v_and_or_b32 v145, v145, 15, 0x4b000000
	v_and_or_b32 v146, v146, 15, 0x4b000000
	;; [unrolled: 1-line block ×4, first 2 shown]
	s_delay_alu instid0(VALU_DEP_4) | instskip(NEXT) | instid1(VALU_DEP_4)
	v_dual_add_f32 v144, 0xcb000008, v144 :: v_dual_add_f32 v145, 0xcb000008, v145
	v_add_f32_e32 v146, 0xcb000008, v146
	v_add_f32_e32 v142, 0xcb000008, v142
	v_lshrrev_b32_e32 v140, 16, v140
	v_lshrrev_b32_e32 v143, 16, v143
	v_dual_add_f32 v148, 0xcb000008, v82 :: v_dual_add_f32 v147, 0xcb000008, v147
	v_lshrrev_b32_e32 v145, 16, v145
	v_lshrrev_b32_e32 v146, 16, v146
	v_and_or_b32 v82, 0xffff0000, v141, v58
	v_and_or_b32 v140, 0xffff0000, v144, v140
	;; [unrolled: 1-line block ×5, first 2 shown]
	; sched_barrier mask(0x00000000)
	s_barrier_signal -1
	s_barrier_wait -1
	; sched_barrier mask(0x00000000)
	v_wmma_f32_16x16x16_bf16 v[1:8], v[120:123], v[13:16], v[1:8]
	s_delay_alu instid0(VALU_DEP_1) | instskip(NEXT) | instid1(VALU_DEP_1)
	v_wmma_f32_16x16x16_bf16 v[1:8], v[124:127], v[17:20], v[1:8]
	v_wmma_f32_16x16x16_bf16 v[1:8], v[128:131], v[21:24], v[1:8]
	s_delay_alu instid0(VALU_DEP_1)
	v_wmma_f32_16x16x16_bf16 v[1:8], v[9:12], v[67:70], v[1:8]
	; sched_barrier mask(0x00000000)
	s_setprio 1
	; sched_barrier mask(0x00000000)
	; sched_barrier mask(0x00000000)
	s_wait_dscnt 0x0
	s_barrier_signal -1
	s_barrier_wait -1
	; sched_barrier mask(0x00000000)
	v_wmma_f32_16x16x16_bf16 v[1:8], v[132:135], v[71:74], v[1:8]
	s_delay_alu instid0(VALU_DEP_1) | instskip(NEXT) | instid1(VALU_DEP_1)
	v_wmma_f32_16x16x16_bf16 v[1:8], v[136:139], v[75:78], v[1:8]
	v_wmma_f32_16x16x16_bf16 v[1:8], v[79:82], v[83:86], v[1:8]
	s_delay_alu instid0(VALU_DEP_1)
	v_wmma_f32_16x16x16_bf16 v[1:8], v[140:143], v[87:90], v[1:8]
	; sched_barrier mask(0x00000000)
	s_setprio 0
	; sched_barrier mask(0x00000000)
	v_add_nc_u32_e32 v9, 0x80, v57
	v_lshrrev_b32_e32 v10, 31, v57
	v_add_nc_u32_e64 v58, 6, s7
	v_add_nc_u32_e32 v64, v64, v61
	v_add_nc_u32_e32 v106, 12, v106
	v_lshrrev_b32_e32 v11, 31, v9
	v_add_nc_u32_e32 v10, v57, v10
	v_sub_nc_u32_e32 v58, v58, v65
	v_add3_u32 v61, v66, v63, v117
	v_add_nc_u32_e32 v107, v107, v112
	v_add_nc_u32_e32 v9, v9, v11
	v_ashrrev_i32_e32 v17, 1, v10
	v_mad_co_u64_u32 v[57:58], null, v58, s12, v[57:58]
	v_add_nc_u32_e32 v116, 0x300, v116
	s_delay_alu instid0(VALU_DEP_4)
	v_ashrrev_i32_e32 v18, 1, v9
	v_add_nc_u32_e32 v113, 0x300, v113
	s_clause 0x1
	buffer_load_b128 v[9:12], v118, s[0:3], null offen offset:1280
	buffer_load_b128 v[13:16], v119, s[0:3], null offen
	s_clause 0x1
	buffer_load_b128 v[21:24], v17, s[8:11], null offen
	buffer_load_b128 v[17:20], v18, s[8:11], null offen
	v_add_nc_u32_e32 v62, v64, v62
	v_lshrrev_b32_e32 v58, 2, v106
	s_add_co_i32 s7, s7, 3
	s_wait_loadcnt 0xb
	ds_store_b128 v64, v[41:44]
	s_wait_loadcnt 0xa
	ds_store_b128 v62, v[45:48]
	s_wait_loadcnt 0x9
	ds_store_b128 v59, v[49:52] offset:4096
	s_wait_loadcnt 0x8
	ds_store_b128 v104, v[53:56] offset:4096
	s_wait_alu 0xfffe
	s_cmp_lt_i32 s7, s14
	s_cbranch_scc1 .LBB9_12
; %bb.13:
	s_wait_dscnt 0x0
	s_barrier_signal -1
	s_barrier_wait -1
	ds_load_b128 v[49:52], v102 offset:4096
	ds_load_b128 v[53:56], v94
	ds_load_b128 v[63:66], v95
	;; [unrolled: 1-line block ×8, first 2 shown]
	ds_load_b128 v[83:86], v93 offset:4096
	s_lshl_b64 s[0:1], s[20:21], 1
	s_mov_b32 s3, 0
	s_mov_b32 s2, s13
	s_add_nc_u64 s[8:9], s[16:17], s[0:1]
	s_mul_u64 s[2:3], s[18:19], s[2:3]
	s_wait_dscnt 0x9
	v_and_or_b32 v57, v49, 15, 0x4b000000
	v_lshrrev_b32_e32 v58, 4, v49
	v_lshrrev_b32_e32 v61, 8, v49
	;; [unrolled: 1-line block ×3, first 2 shown]
	v_ashrrev_i32_e32 v49, 16, v49
	v_lshrrev_b32_e32 v90, 4, v50
	v_and_or_b32 v58, v58, 15, 0x4b000000
	v_and_or_b32 v61, v61, 15, 0x4b000000
	;; [unrolled: 1-line block ×3, first 2 shown]
	v_lshrrev_b32_e32 v88, 4, v49
	s_delay_alu instid0(VALU_DEP_4) | instskip(SKIP_1) | instid1(VALU_DEP_4)
	v_dual_add_f32 v57, 0xcb000008, v57 :: v_dual_add_f32 v58, 0xcb000008, v58
	v_and_or_b32 v90, v90, 15, 0x4b000000
	v_add_f32_e32 v87, 0xcb000008, v87
	s_delay_alu instid0(VALU_DEP_4)
	v_and_or_b32 v88, v88, 15, 0x4b000000
	v_add_f32_e32 v61, 0xcb000008, v61
	v_lshrrev_b32_e32 v58, 16, v58
	v_add_f32_e32 v90, 0xcb000008, v90
	v_lshrrev_b32_e32 v106, 16, v87
	v_add_f32_e32 v88, 0xcb000008, v88
	v_and_or_b32 v89, v49, 15, 0x4b000000
	v_and_or_b32 v87, 0xffff0000, v57, v58
	v_lshrrev_b32_e32 v57, 8, v50
	v_lshrrev_b32_e32 v58, 12, v50
	;; [unrolled: 1-line block ×3, first 2 shown]
	v_and_or_b32 v88, 0xffff0000, v61, v106
	v_and_or_b32 v61, v50, 15, 0x4b000000
	v_ashrrev_i32_e32 v50, 16, v50
	v_lshrrev_b32_e32 v105, 8, v49
	v_lshrrev_b32_e32 v49, 12, v49
	v_and_or_b32 v58, v58, 15, 0x4b000000
	v_add_f32_e32 v89, 0xcb000008, v89
	v_lshrrev_b32_e32 v106, 4, v50
	v_and_or_b32 v57, v57, 15, 0x4b000000
	v_and_or_b32 v49, v49, 15, 0x4b000000
	v_add_f32_e32 v58, 0xcb000008, v58
	v_and_or_b32 v89, 0xffff0000, v89, v107
	v_lshrrev_b32_e32 v107, 12, v50
	v_and_or_b32 v106, v106, 15, 0x4b000000
	v_and_or_b32 v105, v105, 15, 0x4b000000
	v_add_f32_e32 v49, 0xcb000008, v49
	v_add_f32_e32 v57, 0xcb000008, v57
	v_lshrrev_b32_e32 v108, 8, v50
	v_and_or_b32 v107, v107, 15, 0x4b000000
	v_and_or_b32 v50, v50, 15, 0x4b000000
	v_add_f32_e32 v106, 0xcb000008, v106
	v_lshrrev_b32_e32 v58, 16, v58
	v_add_f32_e32 v105, 0xcb000008, v105
	v_lshrrev_b32_e32 v49, 16, v49
	v_lshrrev_b32_e32 v109, 16, v90
	v_and_or_b32 v90, v108, 15, 0x4b000000
	v_dual_add_f32 v107, 0xcb000008, v107 :: v_dual_add_f32 v50, 0xcb000008, v50
	v_lshrrev_b32_e32 v110, 16, v106
	v_and_or_b32 v106, 0xffff0000, v57, v58
	v_lshrrev_b32_e32 v57, 12, v51
	v_dual_add_f32 v61, 0xcb000008, v61 :: v_dual_add_f32 v108, 0xcb000008, v90
	v_lshrrev_b32_e32 v111, 16, v107
	v_and_or_b32 v90, 0xffff0000, v105, v49
	v_and_or_b32 v107, 0xffff0000, v50, v110
	v_lshrrev_b32_e32 v49, 4, v51
	v_lshrrev_b32_e32 v50, 8, v51
	v_and_or_b32 v58, v51, 15, 0x4b000000
	v_ashrrev_i32_e32 v51, 16, v51
	v_and_or_b32 v57, v57, 15, 0x4b000000
	v_and_or_b32 v105, 0xffff0000, v61, v109
	;; [unrolled: 1-line block ×4, first 2 shown]
	v_lshrrev_b32_e32 v110, 8, v51
	v_add_f32_e32 v57, 0xcb000008, v57
	v_lshrrev_b32_e32 v61, 4, v51
	v_add_f32_e32 v50, 0xcb000008, v50
	v_lshrrev_b32_e32 v109, 12, v51
	v_and_or_b32 v110, v110, 15, 0x4b000000
	v_lshrrev_b32_e32 v57, 16, v57
	v_add_f32_e32 v49, 0xcb000008, v49
	v_and_or_b32 v61, v61, 15, 0x4b000000
	v_and_or_b32 v109, v109, 15, 0x4b000000
	v_add_f32_e32 v112, 0xcb000008, v110
	v_and_or_b32 v110, 0xffff0000, v50, v57
	v_lshrrev_b32_e32 v50, 8, v52
	v_and_or_b32 v51, v51, 15, 0x4b000000
	v_add_f32_e32 v58, 0xcb000008, v58
	v_lshrrev_b32_e32 v49, 16, v49
	v_add_f32_e32 v109, 0xcb000008, v109
	v_and_or_b32 v50, v50, 15, 0x4b000000
	v_add_f32_e32 v61, 0xcb000008, v61
	v_add_f32_e32 v51, 0xcb000008, v51
	v_ashrrev_i32_e32 v57, 16, v52
	v_and_or_b32 v108, 0xffff0000, v108, v111
	v_add_f32_e32 v50, 0xcb000008, v50
	v_lshrrev_b32_e32 v61, 16, v61
	v_lshrrev_b32_e32 v113, 16, v109
	v_and_or_b32 v109, 0xffff0000, v58, v49
	v_lshrrev_b32_e32 v49, 4, v52
	v_lshrrev_b32_e32 v58, 4, v57
	v_and_or_b32 v111, 0xffff0000, v51, v61
	v_lshrrev_b32_e32 v51, 12, v52
	v_and_or_b32 v112, 0xffff0000, v112, v113
	v_and_or_b32 v49, v49, 15, 0x4b000000
	;; [unrolled: 1-line block ×5, first 2 shown]
	v_lshrrev_b32_e32 v61, 12, v57
	v_lshrrev_b32_e32 v113, 8, v57
	v_and_or_b32 v57, v57, 15, 0x4b000000
	s_delay_alu instid0(VALU_DEP_4)
	v_dual_add_f32 v58, 0xcb000008, v58 :: v_dual_add_f32 v51, 0xcb000008, v51
	s_wait_dscnt 0x0
	v_and_or_b32 v114, v83, 15, 0x4b000000
	v_dual_add_f32 v49, 0xcb000008, v49 :: v_dual_add_f32 v52, 0xcb000008, v52
	v_and_or_b32 v61, v61, 15, 0x4b000000
	v_lshrrev_b32_e32 v51, 16, v51
	v_and_or_b32 v113, v113, 15, 0x4b000000
	v_add_f32_e32 v57, 0xcb000008, v57
	v_lshrrev_b32_e32 v58, 16, v58
	v_add_f32_e32 v114, 0xcb000008, v114
	v_lshrrev_b32_e32 v49, 16, v49
	v_and_or_b32 v50, 0xffff0000, v50, v51
	s_delay_alu instid0(VALU_DEP_4) | instskip(SKIP_1) | instid1(VALU_DEP_4)
	v_and_or_b32 v51, 0xffff0000, v57, v58
	v_lshrrev_b32_e32 v57, 4, v83
	v_and_or_b32 v49, 0xffff0000, v52, v49
	v_add_f32_e32 v52, 0xcb000008, v61
	v_add_f32_e32 v61, 0xcb000008, v113
	v_lshrrev_b32_e32 v58, 8, v83
	v_lshrrev_b32_e32 v113, 12, v83
	v_ashrrev_i32_e32 v83, 16, v83
	v_and_or_b32 v57, v57, 15, 0x4b000000
	v_lshrrev_b32_e32 v52, 16, v52
	v_and_or_b32 v58, v58, 15, 0x4b000000
	v_and_or_b32 v113, v113, 15, 0x4b000000
	v_lshrrev_b32_e32 v115, 4, v83
	v_add_f32_e32 v57, 0xcb000008, v57
	v_lshrrev_b32_e32 v116, 12, v83
	v_lshrrev_b32_e32 v118, 8, v83
	v_add_f32_e32 v113, 0xcb000008, v113
	v_and_or_b32 v115, v115, 15, 0x4b000000
	v_and_or_b32 v83, v83, 15, 0x4b000000
	v_add_f32_e32 v58, 0xcb000008, v58
	v_and_or_b32 v116, v116, 15, 0x4b000000
	v_lshrrev_b32_e32 v57, 16, v57
	v_add_f32_e32 v115, 0xcb000008, v115
	v_and_or_b32 v118, v118, 15, 0x4b000000
	v_lshrrev_b32_e32 v119, 16, v113
	v_dual_add_f32 v83, 0xcb000008, v83 :: v_dual_add_f32 v116, 0xcb000008, v116
	s_delay_alu instid0(VALU_DEP_4) | instskip(NEXT) | instid1(VALU_DEP_4)
	v_lshrrev_b32_e32 v115, 16, v115
	v_add_f32_e32 v118, 0xcb000008, v118
	v_and_or_b32 v52, 0xffff0000, v61, v52
	v_and_or_b32 v113, 0xffff0000, v114, v57
	;; [unrolled: 1-line block ×4, first 2 shown]
	v_lshrrev_b32_e32 v57, 4, v84
	v_lshrrev_b32_e32 v58, 8, v84
	;; [unrolled: 1-line block ×3, first 2 shown]
	v_and_or_b32 v83, v84, 15, 0x4b000000
	v_ashrrev_i32_e32 v84, 16, v84
	v_lshrrev_b32_e32 v116, 16, v116
	v_and_or_b32 v58, v58, 15, 0x4b000000
	v_and_or_b32 v61, v61, 15, 0x4b000000
	;; [unrolled: 1-line block ×3, first 2 shown]
	v_lshrrev_b32_e32 v119, 12, v84
	v_and_or_b32 v116, 0xffff0000, v118, v116
	v_lshrrev_b32_e32 v118, 4, v84
	v_dual_add_f32 v61, 0xcb000008, v61 :: v_dual_add_f32 v58, 0xcb000008, v58
	s_delay_alu instid0(VALU_DEP_4) | instskip(SKIP_1) | instid1(VALU_DEP_4)
	v_and_or_b32 v119, v119, 15, 0x4b000000
	v_lshrrev_b32_e32 v120, 8, v84
	v_and_or_b32 v118, v118, 15, 0x4b000000
	s_delay_alu instid0(VALU_DEP_4) | instskip(SKIP_4) | instid1(VALU_DEP_4)
	v_lshrrev_b32_e32 v61, 16, v61
	v_and_or_b32 v84, v84, 15, 0x4b000000
	v_add_f32_e32 v119, 0xcb000008, v119
	v_and_or_b32 v120, v120, 15, 0x4b000000
	v_add_f32_e32 v118, 0xcb000008, v118
	v_add_f32_e32 v84, 0xcb000008, v84
	s_delay_alu instid0(VALU_DEP_4)
	v_lshrrev_b32_e32 v123, 16, v119
	v_and_or_b32 v119, 0xffff0000, v58, v61
	v_lshrrev_b32_e32 v58, 8, v85
	v_lshrrev_b32_e32 v121, 16, v118
	v_add_f32_e32 v122, 0xcb000008, v120
	v_lshrrev_b32_e32 v61, 12, v85
	s_delay_alu instid0(VALU_DEP_4) | instskip(SKIP_3) | instid1(VALU_DEP_4)
	v_and_or_b32 v58, v58, 15, 0x4b000000
	v_add_f32_e32 v57, 0xcb000008, v57
	v_and_or_b32 v120, 0xffff0000, v84, v121
	v_and_or_b32 v84, v85, 15, 0x4b000000
	v_dual_add_f32 v83, 0xcb000008, v83 :: v_dual_add_f32 v58, 0xcb000008, v58
	s_delay_alu instid0(VALU_DEP_4) | instskip(SKIP_1) | instid1(VALU_DEP_4)
	v_lshrrev_b32_e32 v57, 16, v57
	v_and_or_b32 v121, 0xffff0000, v122, v123
	v_add_f32_e32 v84, 0xcb000008, v84
	v_and_or_b32 v61, v61, 15, 0x4b000000
	s_delay_alu instid0(VALU_DEP_4) | instskip(SKIP_2) | instid1(VALU_DEP_4)
	v_and_or_b32 v118, 0xffff0000, v83, v57
	v_ashrrev_i32_e32 v83, 16, v85
	v_lshrrev_b32_e32 v57, 4, v85
	v_add_f32_e32 v61, 0xcb000008, v61
	s_delay_alu instid0(VALU_DEP_3) | instskip(NEXT) | instid1(VALU_DEP_3)
	v_lshrrev_b32_e32 v85, 4, v83
	v_and_or_b32 v57, v57, 15, 0x4b000000
	v_lshrrev_b32_e32 v123, 8, v83
	v_lshrrev_b32_e32 v122, 12, v83
	v_and_or_b32 v83, v83, 15, 0x4b000000
	v_and_or_b32 v85, v85, 15, 0x4b000000
	v_lshrrev_b32_e32 v61, 16, v61
	v_and_or_b32 v123, v123, 15, 0x4b000000
	v_add_f32_e32 v57, 0xcb000008, v57
	v_and_or_b32 v122, v122, 15, 0x4b000000
	v_dual_add_f32 v85, 0xcb000008, v85 :: v_dual_add_f32 v124, 0xcb000008, v83
	s_delay_alu instid0(VALU_DEP_3) | instskip(NEXT) | instid1(VALU_DEP_2)
	v_lshrrev_b32_e32 v57, 16, v57
	v_lshrrev_b32_e32 v85, 16, v85
	s_delay_alu instid0(VALU_DEP_2)
	v_and_or_b32 v83, 0xffff0000, v84, v57
	v_add_f32_e32 v57, 0xcb000008, v122
	v_and_or_b32 v84, 0xffff0000, v58, v61
	v_add_f32_e32 v58, 0xcb000008, v123
	v_and_or_b32 v85, 0xffff0000, v124, v85
	v_lshrrev_b32_e32 v61, 4, v86
	v_lshrrev_b32_e32 v122, 8, v86
	;; [unrolled: 1-line block ×3, first 2 shown]
	v_and_or_b32 v124, v86, 15, 0x4b000000
	v_ashrrev_i32_e32 v86, 16, v86
	v_and_or_b32 v61, v61, 15, 0x4b000000
	v_and_or_b32 v122, v122, 15, 0x4b000000
	;; [unrolled: 1-line block ×3, first 2 shown]
	v_add_f32_e32 v124, 0xcb000008, v124
	v_lshrrev_b32_e32 v125, 4, v86
	v_lshrrev_b32_e32 v126, 12, v86
	s_delay_alu instid0(VALU_DEP_4) | instskip(SKIP_1) | instid1(VALU_DEP_4)
	v_dual_add_f32 v127, 0xcb000008, v122 :: v_dual_add_f32 v122, 0xcb000008, v123
	v_lshrrev_b32_e32 v123, 8, v86
	v_and_or_b32 v125, v125, 15, 0x4b000000
	s_delay_alu instid0(VALU_DEP_4) | instskip(SKIP_3) | instid1(VALU_DEP_4)
	v_and_or_b32 v126, v126, 15, 0x4b000000
	v_add_f32_e32 v61, 0xcb000008, v61
	v_and_or_b32 v86, v86, 15, 0x4b000000
	v_and_or_b32 v123, v123, 15, 0x4b000000
	v_dual_add_f32 v125, 0xcb000008, v125 :: v_dual_add_f32 v126, 0xcb000008, v126
	s_delay_alu instid0(VALU_DEP_4) | instskip(SKIP_1) | instid1(VALU_DEP_4)
	v_lshrrev_b32_e32 v61, 16, v61
	v_lshrrev_b32_e32 v128, 16, v122
	v_dual_add_f32 v129, 0xcb000008, v86 :: v_dual_add_f32 v130, 0xcb000008, v123
	v_lshrrev_b32_e32 v57, 16, v57
	v_lshrrev_b32_e32 v125, 16, v125
	;; [unrolled: 1-line block ×3, first 2 shown]
	v_and_or_b32 v122, 0xffff0000, v124, v61
	v_and_or_b32 v123, 0xffff0000, v127, v128
	;; [unrolled: 1-line block ×5, first 2 shown]
	; sched_barrier mask(0x00000000)
	s_barrier_signal -1
	s_barrier_wait -1
	; sched_barrier mask(0x00000000)
	v_wmma_f32_16x16x16_bf16 v[1:8], v[87:90], v[53:56], v[1:8]
	s_delay_alu instid0(VALU_DEP_1) | instskip(NEXT) | instid1(VALU_DEP_1)
	v_wmma_f32_16x16x16_bf16 v[1:8], v[105:108], v[63:66], v[1:8]
	v_wmma_f32_16x16x16_bf16 v[1:8], v[109:112], v[67:70], v[1:8]
	s_delay_alu instid0(VALU_DEP_1)
	v_wmma_f32_16x16x16_bf16 v[1:8], v[49:52], v[71:74], v[1:8]
	; sched_barrier mask(0x00000000)
	s_setprio 1
	; sched_barrier mask(0x00000000)
	; sched_barrier mask(0x00000000)
	s_wait_dscnt 0x0
	s_barrier_signal -1
	s_barrier_wait -1
	; sched_barrier mask(0x00000000)
	v_wmma_f32_16x16x16_bf16 v[1:8], v[113:116], v[75:78], v[1:8]
	s_delay_alu instid0(VALU_DEP_1) | instskip(NEXT) | instid1(VALU_DEP_1)
	v_wmma_f32_16x16x16_bf16 v[1:8], v[118:121], v[79:82], v[1:8]
	v_wmma_f32_16x16x16_bf16 v[1:8], v[83:86], v[45:48], v[1:8]
	s_delay_alu instid0(VALU_DEP_1) | instskip(SKIP_2) | instid1(VALU_DEP_1)
	v_wmma_f32_16x16x16_bf16 v[1:8], v[122:125], v[41:44], v[1:8]
	; sched_barrier mask(0x00000000)
	s_setprio 0
	; sched_barrier mask(0x00000000)
	v_lshl_add_u32 v42, v117, 1, v62
	v_lshl_add_u32 v41, v60, 1, v42
	s_wait_loadcnt 0x7
	ds_store_b128 v42, v[37:40]
	s_wait_loadcnt 0x6
	ds_store_b128 v41, v[33:36] offset:256
	s_wait_loadcnt 0x5
	ds_store_b128 v59, v[29:32] offset:4096
	;; [unrolled: 2-line block ×3, first 2 shown]
	s_wait_dscnt 0x0
	s_barrier_signal -1
	s_barrier_wait -1
	ds_load_b128 v[33:36], v102 offset:4096
	ds_load_b128 v[37:40], v94
	ds_load_b128 v[42:45], v95
	;; [unrolled: 1-line block ×8, first 2 shown]
	ds_load_b128 v[64:67], v93 offset:4096
	s_wait_dscnt 0x9
	v_and_or_b32 v58, v33, 15, 0x4b000000
	v_lshrrev_b32_e32 v68, 4, v33
	v_lshrrev_b32_e32 v69, 8, v33
	;; [unrolled: 1-line block ×3, first 2 shown]
	v_ashrrev_i32_e32 v33, 16, v33
	v_lshrrev_b32_e32 v72, 4, v34
	v_and_or_b32 v68, v68, 15, 0x4b000000
	v_and_or_b32 v69, v69, 15, 0x4b000000
	;; [unrolled: 1-line block ×3, first 2 shown]
	v_lshrrev_b32_e32 v76, 4, v33
	v_and_or_b32 v75, v33, 15, 0x4b000000
	v_lshrrev_b32_e32 v77, 8, v33
	v_lshrrev_b32_e32 v33, 12, v33
	v_add_f32_e32 v68, 0xcb000008, v68
	v_and_or_b32 v76, v76, 15, 0x4b000000
	v_and_or_b32 v71, v34, 15, 0x4b000000
	;; [unrolled: 1-line block ×4, first 2 shown]
	v_add_f32_e32 v70, 0xcb000008, v70
	v_add_f32_e32 v76, 0xcb000008, v76
	v_lshrrev_b32_e32 v73, 8, v34
	v_lshrrev_b32_e32 v74, 12, v34
	v_ashrrev_i32_e32 v34, 16, v34
	v_dual_add_f32 v58, 0xcb000008, v58 :: v_dual_add_f32 v69, 0xcb000008, v69
	v_and_or_b32 v72, v72, 15, 0x4b000000
	v_add_f32_e32 v75, 0xcb000008, v75
	v_lshrrev_b32_e32 v68, 16, v68
	v_add_f32_e32 v33, 0xcb000008, v33
	v_lshrrev_b32_e32 v70, 16, v70
	;; [unrolled: 2-line block ×3, first 2 shown]
	v_and_or_b32 v68, 0xffff0000, v58, v68
	v_and_or_b32 v58, v74, 15, 0x4b000000
	;; [unrolled: 1-line block ×3, first 2 shown]
	v_dual_add_f32 v74, 0xcb000008, v71 :: v_dual_add_f32 v71, 0xcb000008, v72
	v_and_or_b32 v70, 0xffff0000, v75, v76
	v_lshrrev_b32_e32 v72, 4, v34
	v_lshrrev_b32_e32 v75, 12, v34
	;; [unrolled: 1-line block ×3, first 2 shown]
	v_and_or_b32 v73, v73, 15, 0x4b000000
	v_lshrrev_b32_e32 v33, 16, v33
	v_and_or_b32 v72, v72, 15, 0x4b000000
	v_and_or_b32 v75, v75, 15, 0x4b000000
	v_lshrrev_b32_e32 v78, 16, v71
	v_and_or_b32 v71, v76, 15, 0x4b000000
	v_dual_add_f32 v73, 0xcb000008, v73 :: v_dual_add_f32 v58, 0xcb000008, v58
	v_and_or_b32 v34, v34, 15, 0x4b000000
	v_dual_add_f32 v72, 0xcb000008, v72 :: v_dual_add_f32 v75, 0xcb000008, v75
	s_delay_alu instid0(VALU_DEP_4)
	v_add_f32_e32 v76, 0xcb000008, v71
	v_and_or_b32 v71, 0xffff0000, v77, v33
	v_lshrrev_b32_e32 v33, 4, v35
	v_lshrrev_b32_e32 v58, 16, v58
	;; [unrolled: 1-line block ×4, first 2 shown]
	v_and_or_b32 v72, 0xffff0000, v74, v78
	v_and_or_b32 v33, v33, 15, 0x4b000000
	v_add_f32_e32 v34, 0xcb000008, v34
	v_and_or_b32 v73, 0xffff0000, v73, v58
	v_and_or_b32 v75, 0xffff0000, v76, v75
	v_lshrrev_b32_e32 v58, 12, v35
	v_and_or_b32 v76, v35, 15, 0x4b000000
	v_add_f32_e32 v33, 0xcb000008, v33
	v_and_or_b32 v74, 0xffff0000, v34, v79
	v_lshrrev_b32_e32 v34, 8, v35
	v_ashrrev_i32_e32 v35, 16, v35
	v_and_or_b32 v58, v58, 15, 0x4b000000
	v_lshrrev_b32_e32 v33, 16, v33
	s_wait_dscnt 0x0
	v_and_or_b32 v83, v64, 15, 0x4b000000
	v_and_or_b32 v34, v34, 15, 0x4b000000
	v_lshrrev_b32_e32 v77, 4, v35
	v_lshrrev_b32_e32 v78, 12, v35
	;; [unrolled: 1-line block ×3, first 2 shown]
	v_and_or_b32 v35, v35, 15, 0x4b000000
	v_add_f32_e32 v76, 0xcb000008, v76
	v_and_or_b32 v77, v77, 15, 0x4b000000
	v_and_or_b32 v78, v78, 15, 0x4b000000
	;; [unrolled: 1-line block ×3, first 2 shown]
	v_add_f32_e32 v35, 0xcb000008, v35
	v_and_or_b32 v76, 0xffff0000, v76, v33
	v_lshrrev_b32_e32 v33, 4, v36
	s_delay_alu instid0(VALU_DEP_4) | instskip(SKIP_1) | instid1(VALU_DEP_3)
	v_dual_add_f32 v34, 0xcb000008, v34 :: v_dual_add_f32 v79, 0xcb000008, v79
	v_dual_add_f32 v77, 0xcb000008, v77 :: v_dual_add_f32 v78, 0xcb000008, v78
	v_and_or_b32 v33, v33, 15, 0x4b000000
	v_dual_add_f32 v58, 0xcb000008, v58 :: v_dual_add_f32 v83, 0xcb000008, v83
	s_delay_alu instid0(VALU_DEP_3) | instskip(NEXT) | instid1(VALU_DEP_4)
	v_lshrrev_b32_e32 v80, 16, v77
	v_lshrrev_b32_e32 v81, 16, v78
	s_delay_alu instid0(VALU_DEP_4) | instskip(NEXT) | instid1(VALU_DEP_4)
	v_add_f32_e32 v33, 0xcb000008, v33
	v_lshrrev_b32_e32 v58, 16, v58
	s_delay_alu instid0(VALU_DEP_4) | instskip(SKIP_2) | instid1(VALU_DEP_4)
	v_and_or_b32 v78, 0xffff0000, v35, v80
	v_lshrrev_b32_e32 v35, 12, v36
	v_and_or_b32 v79, 0xffff0000, v79, v81
	v_and_or_b32 v77, 0xffff0000, v34, v58
	v_ashrrev_i32_e32 v58, 16, v36
	v_lshrrev_b32_e32 v34, 8, v36
	v_and_or_b32 v35, v35, 15, 0x4b000000
	v_and_or_b32 v36, v36, 15, 0x4b000000
	v_lshrrev_b32_e32 v33, 16, v33
	v_lshrrev_b32_e32 v80, 4, v58
	v_and_or_b32 v34, v34, 15, 0x4b000000
	v_add_f32_e32 v35, 0xcb000008, v35
	v_lshrrev_b32_e32 v81, 12, v58
	v_lshrrev_b32_e32 v82, 8, v58
	v_and_or_b32 v80, v80, 15, 0x4b000000
	v_and_or_b32 v58, v58, 15, 0x4b000000
	v_add_f32_e32 v34, 0xcb000008, v34
	v_lshrrev_b32_e32 v35, 16, v35
	v_and_or_b32 v81, v81, 15, 0x4b000000
	v_add_f32_e32 v80, 0xcb000008, v80
	v_and_or_b32 v82, v82, 15, 0x4b000000
	v_add_f32_e32 v36, 0xcb000008, v36
	v_add_f32_e32 v58, 0xcb000008, v58
	v_and_or_b32 v34, 0xffff0000, v34, v35
	v_lshrrev_b32_e32 v80, 16, v80
	s_delay_alu instid0(VALU_DEP_4) | instskip(SKIP_1) | instid1(VALU_DEP_3)
	v_and_or_b32 v33, 0xffff0000, v36, v33
	v_dual_add_f32 v36, 0xcb000008, v81 :: v_dual_add_f32 v81, 0xcb000008, v82
	v_and_or_b32 v35, 0xffff0000, v58, v80
	v_lshrrev_b32_e32 v58, 4, v64
	v_lshrrev_b32_e32 v80, 8, v64
	;; [unrolled: 1-line block ×3, first 2 shown]
	v_ashrrev_i32_e32 v64, 16, v64
	v_lshrrev_b32_e32 v36, 16, v36
	v_and_or_b32 v58, v58, 15, 0x4b000000
	v_and_or_b32 v80, v80, 15, 0x4b000000
	;; [unrolled: 1-line block ×3, first 2 shown]
	v_lshrrev_b32_e32 v84, 4, v64
	v_lshrrev_b32_e32 v85, 12, v64
	v_add_f32_e32 v58, 0xcb000008, v58
	v_add_f32_e32 v86, 0xcb000008, v80
	;; [unrolled: 1-line block ×3, first 2 shown]
	v_lshrrev_b32_e32 v82, 8, v64
	v_and_or_b32 v84, v84, 15, 0x4b000000
	v_and_or_b32 v85, v85, 15, 0x4b000000
	v_and_or_b32 v64, v64, 15, 0x4b000000
	v_lshrrev_b32_e32 v58, 16, v58
	v_and_or_b32 v82, v82, 15, 0x4b000000
	s_delay_alu instid0(VALU_DEP_4) | instskip(NEXT) | instid1(VALU_DEP_4)
	v_dual_add_f32 v84, 0xcb000008, v84 :: v_dual_add_f32 v85, 0xcb000008, v85
	v_add_f32_e32 v64, 0xcb000008, v64
	v_lshrrev_b32_e32 v87, 16, v80
	s_delay_alu instid0(VALU_DEP_4) | instskip(NEXT) | instid1(VALU_DEP_4)
	v_add_f32_e32 v88, 0xcb000008, v82
	v_lshrrev_b32_e32 v82, 16, v84
	v_lshrrev_b32_e32 v84, 16, v85
	v_and_or_b32 v80, 0xffff0000, v83, v58
	v_lshrrev_b32_e32 v58, 4, v65
	v_and_or_b32 v85, v65, 15, 0x4b000000
	v_and_or_b32 v82, 0xffff0000, v64, v82
	;; [unrolled: 1-line block ×3, first 2 shown]
	v_lshrrev_b32_e32 v64, 8, v65
	v_lshrrev_b32_e32 v84, 12, v65
	v_ashrrev_i32_e32 v65, 16, v65
	v_and_or_b32 v36, 0xffff0000, v81, v36
	v_and_or_b32 v81, 0xffff0000, v86, v87
	;; [unrolled: 1-line block ×4, first 2 shown]
	v_lshrrev_b32_e32 v86, 4, v65
	v_lshrrev_b32_e32 v87, 12, v65
	;; [unrolled: 1-line block ×3, first 2 shown]
	v_and_or_b32 v64, v64, 15, 0x4b000000
	v_add_f32_e32 v58, 0xcb000008, v58
	v_and_or_b32 v86, v86, 15, 0x4b000000
	v_and_or_b32 v87, v87, 15, 0x4b000000
	v_add_f32_e32 v84, 0xcb000008, v84
	v_and_or_b32 v65, v65, 15, 0x4b000000
	v_and_or_b32 v88, v88, 15, 0x4b000000
	s_delay_alu instid0(VALU_DEP_4)
	v_dual_add_f32 v86, 0xcb000008, v86 :: v_dual_add_f32 v87, 0xcb000008, v87
	v_dual_add_f32 v85, 0xcb000008, v85 :: v_dual_add_f32 v64, 0xcb000008, v64
	v_lshrrev_b32_e32 v58, 16, v58
	v_lshrrev_b32_e32 v89, 16, v84
	v_add_f32_e32 v65, 0xcb000008, v65
	v_lshrrev_b32_e32 v86, 16, v86
	v_add_f32_e32 v88, 0xcb000008, v88
	v_lshrrev_b32_e32 v87, 16, v87
	v_and_or_b32 v84, 0xffff0000, v85, v58
	v_and_or_b32 v85, 0xffff0000, v64, v89
	;; [unrolled: 1-line block ×3, first 2 shown]
	v_lshrrev_b32_e32 v64, 8, v66
	v_and_or_b32 v87, 0xffff0000, v88, v87
	v_lshrrev_b32_e32 v65, 12, v66
	v_ashrrev_i32_e32 v88, 16, v66
	v_lshrrev_b32_e32 v58, 4, v66
	v_and_or_b32 v64, v64, 15, 0x4b000000
	v_and_or_b32 v66, v66, 15, 0x4b000000
	v_and_or_b32 v65, v65, 15, 0x4b000000
	v_lshrrev_b32_e32 v89, 4, v88
	v_and_or_b32 v58, v58, 15, 0x4b000000
	v_add_f32_e32 v90, 0xcb000008, v64
	v_lshrrev_b32_e32 v105, 8, v88
	v_add_f32_e32 v64, 0xcb000008, v65
	v_and_or_b32 v65, v89, 15, 0x4b000000
	v_add_f32_e32 v58, 0xcb000008, v58
	v_lshrrev_b32_e32 v89, 12, v88
	v_and_or_b32 v88, v88, 15, 0x4b000000
	s_delay_alu instid0(VALU_DEP_4) | instskip(NEXT) | instid1(VALU_DEP_4)
	v_dual_add_f32 v66, 0xcb000008, v66 :: v_dual_add_f32 v65, 0xcb000008, v65
	v_lshrrev_b32_e32 v58, 16, v58
	v_lshrrev_b32_e32 v106, 16, v64
	v_and_or_b32 v89, v89, 15, 0x4b000000
	v_and_or_b32 v105, v105, 15, 0x4b000000
	v_add_f32_e32 v88, 0xcb000008, v88
	v_lshrrev_b32_e32 v107, 16, v65
	v_and_or_b32 v64, 0xffff0000, v66, v58
	v_add_f32_e32 v58, 0xcb000008, v89
	v_and_or_b32 v65, 0xffff0000, v90, v106
	v_add_f32_e32 v89, 0xcb000008, v105
	v_and_or_b32 v66, 0xffff0000, v88, v107
	v_lshrrev_b32_e32 v88, 4, v67
	v_lshrrev_b32_e32 v90, 8, v67
	;; [unrolled: 1-line block ×3, first 2 shown]
	v_and_or_b32 v106, v67, 15, 0x4b000000
	v_ashrrev_i32_e32 v67, 16, v67
	v_and_or_b32 v88, v88, 15, 0x4b000000
	v_and_or_b32 v90, v90, 15, 0x4b000000
	;; [unrolled: 1-line block ×3, first 2 shown]
	v_lshrrev_b32_e32 v58, 16, v58
	v_lshrrev_b32_e32 v107, 4, v67
	;; [unrolled: 1-line block ×4, first 2 shown]
	v_dual_add_f32 v88, 0xcb000008, v88 :: v_dual_add_f32 v105, 0xcb000008, v105
	s_delay_alu instid0(VALU_DEP_4) | instskip(NEXT) | instid1(VALU_DEP_4)
	v_and_or_b32 v107, v107, 15, 0x4b000000
	v_and_or_b32 v108, v108, 15, 0x4b000000
	;; [unrolled: 1-line block ×4, first 2 shown]
	s_delay_alu instid0(VALU_DEP_4) | instskip(NEXT) | instid1(VALU_DEP_4)
	v_dual_add_f32 v106, 0xcb000008, v106 :: v_dual_add_f32 v107, 0xcb000008, v107
	v_add_f32_e32 v108, 0xcb000008, v108
	v_add_f32_e32 v90, 0xcb000008, v90
	v_lshrrev_b32_e32 v88, 16, v88
	v_lshrrev_b32_e32 v110, 16, v105
	v_add_f32_e32 v111, 0xcb000008, v67
	v_add_f32_e32 v109, 0xcb000008, v109
	v_lshrrev_b32_e32 v107, 16, v107
	v_lshrrev_b32_e32 v108, 16, v108
	v_and_or_b32 v67, 0xffff0000, v89, v58
	v_and_or_b32 v105, 0xffff0000, v106, v88
	v_and_or_b32 v106, 0xffff0000, v90, v110
	v_and_or_b32 v107, 0xffff0000, v111, v107
	v_and_or_b32 v108, 0xffff0000, v109, v108
	; sched_barrier mask(0x00000000)
	s_barrier_signal -1
	s_barrier_wait -1
	; sched_barrier mask(0x00000000)
	v_wmma_f32_16x16x16_bf16 v[1:8], v[68:71], v[37:40], v[1:8]
	s_delay_alu instid0(VALU_DEP_1) | instskip(NEXT) | instid1(VALU_DEP_1)
	v_wmma_f32_16x16x16_bf16 v[1:8], v[72:75], v[42:45], v[1:8]
	v_wmma_f32_16x16x16_bf16 v[1:8], v[76:79], v[46:49], v[1:8]
	s_delay_alu instid0(VALU_DEP_1)
	v_wmma_f32_16x16x16_bf16 v[1:8], v[33:36], v[50:53], v[1:8]
	; sched_barrier mask(0x00000000)
	s_setprio 1
	; sched_barrier mask(0x00000000)
	; sched_barrier mask(0x00000000)
	s_wait_dscnt 0x0
	s_barrier_signal -1
	s_barrier_wait -1
	; sched_barrier mask(0x00000000)
	v_wmma_f32_16x16x16_bf16 v[1:8], v[80:83], v[54:57], v[1:8]
	s_delay_alu instid0(VALU_DEP_1) | instskip(NEXT) | instid1(VALU_DEP_1)
	v_wmma_f32_16x16x16_bf16 v[1:8], v[84:87], v[60:63], v[1:8]
	v_wmma_f32_16x16x16_bf16 v[1:8], v[64:67], v[29:32], v[1:8]
	s_delay_alu instid0(VALU_DEP_1)
	v_wmma_f32_16x16x16_bf16 v[1:8], v[105:108], v[25:28], v[1:8]
	; sched_barrier mask(0x00000000)
	s_setprio 0
	; sched_barrier mask(0x00000000)
	v_lshl_add_u32 v25, v103, 1, v41
	s_wait_loadcnt 0x3
	ds_store_b128 v25, v[9:12]
	s_wait_loadcnt 0x2
	ds_store_b128 v41, v[13:16] offset:256
	s_wait_loadcnt 0x1
	ds_store_b128 v59, v[21:24] offset:4096
	;; [unrolled: 2-line block ×3, first 2 shown]
	s_wait_dscnt 0x0
	s_barrier_signal -1
	s_barrier_wait -1
	ds_load_b128 v[17:20], v102 offset:4096
	ds_load_b128 v[21:24], v94
	ds_load_b128 v[25:28], v95
	;; [unrolled: 1-line block ×8, first 2 shown]
	ds_load_b128 v[45:48], v93 offset:4096
	s_wait_dscnt 0x9
	v_and_or_b32 v49, v17, 15, 0x4b000000
	v_lshrrev_b32_e32 v50, 4, v17
	v_lshrrev_b32_e32 v51, 8, v17
	;; [unrolled: 1-line block ×3, first 2 shown]
	v_ashrrev_i32_e32 v17, 16, v17
	v_lshrrev_b32_e32 v53, 4, v18
	v_and_or_b32 v50, v50, 15, 0x4b000000
	v_and_or_b32 v51, v51, 15, 0x4b000000
	;; [unrolled: 1-line block ×3, first 2 shown]
	v_lshrrev_b32_e32 v56, 4, v17
	s_delay_alu instid0(VALU_DEP_4) | instskip(NEXT) | instid1(VALU_DEP_3)
	v_dual_add_f32 v49, 0xcb000008, v49 :: v_dual_add_f32 v50, 0xcb000008, v50
	v_dual_add_f32 v51, 0xcb000008, v51 :: v_dual_add_f32 v52, 0xcb000008, v52
	s_delay_alu instid0(VALU_DEP_3) | instskip(SKIP_1) | instid1(VALU_DEP_4)
	v_and_or_b32 v56, v56, 15, 0x4b000000
	v_and_or_b32 v57, v17, 15, 0x4b000000
	v_lshrrev_b32_e32 v50, 16, v50
	v_lshrrev_b32_e32 v54, 8, v18
	;; [unrolled: 1-line block ×3, first 2 shown]
	s_delay_alu instid0(VALU_DEP_4) | instskip(SKIP_3) | instid1(VALU_DEP_4)
	v_dual_add_f32 v56, 0xcb000008, v56 :: v_dual_add_f32 v57, 0xcb000008, v57
	v_lshrrev_b32_e32 v55, 12, v18
	v_lshrrev_b32_e32 v58, 8, v17
	;; [unrolled: 1-line block ×4, first 2 shown]
	v_and_or_b32 v49, 0xffff0000, v49, v50
	v_and_or_b32 v50, 0xffff0000, v51, v52
	;; [unrolled: 1-line block ×4, first 2 shown]
	v_ashrrev_i32_e32 v18, 16, v18
	v_and_or_b32 v17, v17, 15, 0x4b000000
	v_and_or_b32 v51, 0xffff0000, v57, v56
	;; [unrolled: 1-line block ×3, first 2 shown]
	v_add_f32_e32 v56, 0xcb000008, v52
	v_add_f32_e32 v52, 0xcb000008, v53
	v_lshrrev_b32_e32 v53, 4, v18
	v_lshrrev_b32_e32 v57, 12, v18
	v_and_or_b32 v58, v58, 15, 0x4b000000
	v_add_f32_e32 v17, 0xcb000008, v17
	v_and_or_b32 v54, v54, 15, 0x4b000000
	v_lshrrev_b32_e32 v59, 8, v18
	v_and_or_b32 v53, v53, 15, 0x4b000000
	v_and_or_b32 v57, v57, 15, 0x4b000000
	v_add_f32_e32 v58, 0xcb000008, v58
	v_lshrrev_b32_e32 v17, 16, v17
	s_delay_alu instid0(VALU_DEP_4)
	v_dual_add_f32 v54, 0xcb000008, v54 :: v_dual_add_f32 v53, 0xcb000008, v53
	v_add_f32_e32 v55, 0xcb000008, v55
	v_lshrrev_b32_e32 v60, 16, v52
	v_and_or_b32 v18, v18, 15, 0x4b000000
	v_and_or_b32 v52, v59, 15, 0x4b000000
	v_add_f32_e32 v57, 0xcb000008, v57
	v_lshrrev_b32_e32 v55, 16, v55
	v_lshrrev_b32_e32 v61, 16, v53
	s_delay_alu instid0(VALU_DEP_4) | instskip(NEXT) | instid1(VALU_DEP_4)
	v_dual_add_f32 v18, 0xcb000008, v18 :: v_dual_add_f32 v59, 0xcb000008, v52
	v_lshrrev_b32_e32 v57, 16, v57
	v_and_or_b32 v52, 0xffff0000, v58, v17
	v_and_or_b32 v58, v19, 15, 0x4b000000
	;; [unrolled: 1-line block ×5, first 2 shown]
	v_lshrrev_b32_e32 v17, 4, v19
	v_lshrrev_b32_e32 v18, 8, v19
	v_add_f32_e32 v58, 0xcb000008, v58
	v_and_or_b32 v56, 0xffff0000, v59, v57
	v_lshrrev_b32_e32 v57, 12, v19
	v_ashrrev_i32_e32 v19, 16, v19
	v_and_or_b32 v17, v17, 15, 0x4b000000
	v_and_or_b32 v18, v18, 15, 0x4b000000
	s_wait_dscnt 0x0
	v_and_or_b32 v65, v45, 15, 0x4b000000
	v_and_or_b32 v57, v57, 15, 0x4b000000
	v_lshrrev_b32_e32 v60, 12, v19
	v_dual_add_f32 v17, 0xcb000008, v17 :: v_dual_add_f32 v18, 0xcb000008, v18
	v_lshrrev_b32_e32 v59, 4, v19
	v_lshrrev_b32_e32 v61, 8, v19
	s_delay_alu instid0(VALU_DEP_4)
	v_and_or_b32 v60, v60, 15, 0x4b000000
	v_add_f32_e32 v57, 0xcb000008, v57
	v_lshrrev_b32_e32 v17, 16, v17
	v_and_or_b32 v59, v59, 15, 0x4b000000
	v_and_or_b32 v61, v61, 15, 0x4b000000
	v_add_f32_e32 v60, 0xcb000008, v60
	v_lshrrev_b32_e32 v62, 16, v57
	v_and_or_b32 v57, 0xffff0000, v58, v17
	v_and_or_b32 v19, v19, 15, 0x4b000000
	v_add_f32_e32 v59, 0xcb000008, v59
	v_lshrrev_b32_e32 v60, 16, v60
	v_and_or_b32 v58, 0xffff0000, v18, v62
	v_lshrrev_b32_e32 v18, 8, v20
	v_add_f32_e32 v19, 0xcb000008, v19
	v_lshrrev_b32_e32 v59, 16, v59
	v_lshrrev_b32_e32 v17, 4, v20
	v_and_or_b32 v74, v48, 15, 0x4b000000
	v_and_or_b32 v18, v18, 15, 0x4b000000
	v_add_f32_e32 v61, 0xcb000008, v61
	v_and_or_b32 v59, 0xffff0000, v19, v59
	v_lshrrev_b32_e32 v19, 12, v20
	v_and_or_b32 v17, v17, 15, 0x4b000000
	v_add_f32_e32 v18, 0xcb000008, v18
	v_and_or_b32 v60, 0xffff0000, v61, v60
	v_ashrrev_i32_e32 v61, 16, v20
	v_and_or_b32 v19, v19, 15, 0x4b000000
	v_and_or_b32 v20, v20, 15, 0x4b000000
	v_add_f32_e32 v74, 0xcb000008, v74
	s_delay_alu instid0(VALU_DEP_4) | instskip(NEXT) | instid1(VALU_DEP_4)
	v_lshrrev_b32_e32 v62, 4, v61
	v_add_f32_e32 v19, 0xcb000008, v19
	v_lshrrev_b32_e32 v63, 12, v61
	v_lshrrev_b32_e32 v64, 8, v61
	v_and_or_b32 v61, v61, 15, 0x4b000000
	v_and_or_b32 v62, v62, 15, 0x4b000000
	v_dual_add_f32 v17, 0xcb000008, v17 :: v_dual_add_f32 v20, 0xcb000008, v20
	v_lshrrev_b32_e32 v19, 16, v19
	v_and_or_b32 v63, v63, 15, 0x4b000000
	s_delay_alu instid0(VALU_DEP_4) | instskip(NEXT) | instid1(VALU_DEP_4)
	v_add_f32_e32 v62, 0xcb000008, v62
	v_lshrrev_b32_e32 v17, 16, v17
	v_and_or_b32 v64, v64, 15, 0x4b000000
	v_add_f32_e32 v61, 0xcb000008, v61
	v_and_or_b32 v18, 0xffff0000, v18, v19
	v_lshrrev_b32_e32 v62, 16, v62
	v_and_or_b32 v17, 0xffff0000, v20, v17
	v_dual_add_f32 v20, 0xcb000008, v63 :: v_dual_add_f32 v63, 0xcb000008, v64
	v_lshrrev_b32_e32 v64, 12, v45
	s_delay_alu instid0(VALU_DEP_4)
	v_and_or_b32 v19, 0xffff0000, v61, v62
	v_lshrrev_b32_e32 v61, 4, v45
	v_lshrrev_b32_e32 v62, 8, v45
	v_ashrrev_i32_e32 v45, 16, v45
	v_and_or_b32 v64, v64, 15, 0x4b000000
	v_add_f32_e32 v65, 0xcb000008, v65
	v_and_or_b32 v61, v61, 15, 0x4b000000
	v_and_or_b32 v62, v62, 15, 0x4b000000
	v_lshrrev_b32_e32 v68, 8, v45
	v_lshrrev_b32_e32 v66, 4, v45
	;; [unrolled: 1-line block ×3, first 2 shown]
	v_add_f32_e32 v64, 0xcb000008, v64
	v_and_or_b32 v45, v45, 15, 0x4b000000
	v_and_or_b32 v68, v68, 15, 0x4b000000
	v_add_f32_e32 v61, 0xcb000008, v61
	v_and_or_b32 v66, v66, 15, 0x4b000000
	v_and_or_b32 v67, v67, 15, 0x4b000000
	v_lshrrev_b32_e32 v20, 16, v20
	v_add_f32_e32 v68, 0xcb000008, v68
	v_lshrrev_b32_e32 v61, 16, v61
	v_add_f32_e32 v66, 0xcb000008, v66
	v_add_f32_e32 v62, 0xcb000008, v62
	v_lshrrev_b32_e32 v64, 16, v64
	v_add_f32_e32 v45, 0xcb000008, v45
	v_and_or_b32 v61, 0xffff0000, v65, v61
	v_lshrrev_b32_e32 v65, 8, v46
	v_lshrrev_b32_e32 v66, 16, v66
	v_and_or_b32 v20, 0xffff0000, v63, v20
	v_and_or_b32 v62, 0xffff0000, v62, v64
	s_delay_alu instid0(VALU_DEP_4)
	v_and_or_b32 v65, v65, 15, 0x4b000000
	v_add_f32_e32 v67, 0xcb000008, v67
	v_and_or_b32 v63, 0xffff0000, v45, v66
	v_lshrrev_b32_e32 v45, 4, v46
	v_lshrrev_b32_e32 v66, 12, v46
	v_add_f32_e32 v70, 0xcb000008, v65
	v_lshrrev_b32_e32 v67, 16, v67
	s_delay_alu instid0(VALU_DEP_4) | instskip(NEXT) | instid1(VALU_DEP_4)
	v_and_or_b32 v45, v45, 15, 0x4b000000
	v_and_or_b32 v66, v66, 15, 0x4b000000
	s_delay_alu instid0(VALU_DEP_3) | instskip(SKIP_2) | instid1(VALU_DEP_4)
	v_and_or_b32 v64, 0xffff0000, v68, v67
	v_and_or_b32 v67, v46, 15, 0x4b000000
	v_ashrrev_i32_e32 v46, 16, v46
	v_add_f32_e32 v65, 0xcb000008, v66
	s_delay_alu instid0(VALU_DEP_2) | instskip(SKIP_1) | instid1(VALU_DEP_3)
	v_lshrrev_b32_e32 v68, 4, v46
	v_lshrrev_b32_e32 v69, 12, v46
	;; [unrolled: 1-line block ×3, first 2 shown]
	s_delay_alu instid0(VALU_DEP_3)
	v_and_or_b32 v66, v68, 15, 0x4b000000
	v_lshrrev_b32_e32 v68, 8, v46
	v_and_or_b32 v46, v46, 15, 0x4b000000
	v_add_f32_e32 v67, 0xcb000008, v67
	v_and_or_b32 v69, v69, 15, 0x4b000000
	v_add_f32_e32 v66, 0xcb000008, v66
	v_and_or_b32 v68, v68, 15, 0x4b000000
	v_dual_add_f32 v45, 0xcb000008, v45 :: v_dual_add_f32 v46, 0xcb000008, v46
	s_delay_alu instid0(VALU_DEP_3) | instskip(NEXT) | instid1(VALU_DEP_3)
	v_lshrrev_b32_e32 v72, 16, v66
	v_add_f32_e32 v68, 0xcb000008, v68
	s_delay_alu instid0(VALU_DEP_3) | instskip(SKIP_2) | instid1(VALU_DEP_3)
	v_lshrrev_b32_e32 v45, 16, v45
	v_and_or_b32 v66, 0xffff0000, v70, v71
	v_ashrrev_i32_e32 v70, 16, v47
	v_and_or_b32 v65, 0xffff0000, v67, v45
	v_and_or_b32 v67, 0xffff0000, v46, v72
	v_lshrrev_b32_e32 v46, 8, v47
	v_lshrrev_b32_e32 v45, 4, v47
	;; [unrolled: 1-line block ×5, first 2 shown]
	v_and_or_b32 v46, v46, 15, 0x4b000000
	v_add_f32_e32 v69, 0xcb000008, v69
	v_and_or_b32 v45, v45, 15, 0x4b000000
	v_and_or_b32 v71, v71, 15, 0x4b000000
	;; [unrolled: 1-line block ×3, first 2 shown]
	v_add_f32_e32 v46, 0xcb000008, v46
	v_lshrrev_b32_e32 v69, 16, v69
	v_add_f32_e32 v45, 0xcb000008, v45
	s_delay_alu instid0(VALU_DEP_4) | instskip(SKIP_1) | instid1(VALU_DEP_4)
	v_dual_add_f32 v71, 0xcb000008, v71 :: v_dual_add_f32 v70, 0xcb000008, v70
	v_and_or_b32 v72, v72, 15, 0x4b000000
	v_and_or_b32 v68, 0xffff0000, v68, v69
	v_lshrrev_b32_e32 v69, 12, v47
	v_and_or_b32 v47, v47, 15, 0x4b000000
	v_lshrrev_b32_e32 v45, 16, v45
	v_lshrrev_b32_e32 v71, 16, v71
	v_and_or_b32 v73, v73, 15, 0x4b000000
	v_and_or_b32 v69, v69, 15, 0x4b000000
	v_dual_add_f32 v47, 0xcb000008, v47 :: v_dual_add_f32 v72, 0xcb000008, v72
	s_delay_alu instid0(VALU_DEP_1) | instskip(SKIP_2) | instid1(VALU_DEP_4)
	v_and_or_b32 v45, 0xffff0000, v47, v45
	v_and_or_b32 v47, 0xffff0000, v70, v71
	v_lshrrev_b32_e32 v70, 4, v48
	v_lshrrev_b32_e32 v71, 16, v72
	;; [unrolled: 1-line block ×3, first 2 shown]
	s_delay_alu instid0(VALU_DEP_3) | instskip(SKIP_1) | instid1(VALU_DEP_3)
	v_and_or_b32 v70, v70, 15, 0x4b000000
	v_add_f32_e32 v69, 0xcb000008, v69
	v_and_or_b32 v72, v72, 15, 0x4b000000
	s_delay_alu instid0(VALU_DEP_3) | instskip(NEXT) | instid1(VALU_DEP_3)
	v_add_f32_e32 v70, 0xcb000008, v70
	v_lshrrev_b32_e32 v69, 16, v69
	s_delay_alu instid0(VALU_DEP_3) | instskip(NEXT) | instid1(VALU_DEP_3)
	v_add_f32_e32 v72, 0xcb000008, v72
	v_lshrrev_b32_e32 v70, 16, v70
	s_delay_alu instid0(VALU_DEP_3) | instskip(SKIP_3) | instid1(VALU_DEP_2)
	v_and_or_b32 v46, 0xffff0000, v46, v69
	v_add_f32_e32 v69, 0xcb000008, v73
	v_lshrrev_b32_e32 v73, 12, v48
	v_ashrrev_i32_e32 v48, 16, v48
	v_and_or_b32 v73, v73, 15, 0x4b000000
	s_delay_alu instid0(VALU_DEP_2)
	v_lshrrev_b32_e32 v75, 4, v48
	v_lshrrev_b32_e32 v76, 12, v48
	;; [unrolled: 1-line block ×3, first 2 shown]
	v_and_or_b32 v48, v48, 15, 0x4b000000
	v_add_f32_e32 v73, 0xcb000008, v73
	v_and_or_b32 v75, v75, 15, 0x4b000000
	v_and_or_b32 v76, v76, 15, 0x4b000000
	;; [unrolled: 1-line block ×3, first 2 shown]
	v_add_f32_e32 v78, 0xcb000008, v48
	v_lshrrev_b32_e32 v73, 16, v73
	s_delay_alu instid0(VALU_DEP_4) | instskip(NEXT) | instid1(VALU_DEP_4)
	v_dual_add_f32 v75, 0xcb000008, v75 :: v_dual_add_f32 v76, 0xcb000008, v76
	v_add_f32_e32 v77, 0xcb000008, v77
	v_and_or_b32 v48, 0xffff0000, v69, v71
	v_and_or_b32 v69, 0xffff0000, v74, v70
	s_delay_alu instid0(VALU_DEP_4) | instskip(SKIP_2) | instid1(VALU_DEP_3)
	v_lshrrev_b32_e32 v75, 16, v75
	v_lshrrev_b32_e32 v76, 16, v76
	v_and_or_b32 v70, 0xffff0000, v72, v73
	v_and_or_b32 v71, 0xffff0000, v78, v75
	s_delay_alu instid0(VALU_DEP_3) | instskip(SKIP_3) | instid1(VALU_DEP_1)
	v_and_or_b32 v72, 0xffff0000, v77, v76
	; sched_barrier mask(0x00000000)
	s_barrier_signal -1
	s_barrier_wait -1
	; sched_barrier mask(0x00000000)
	v_wmma_f32_16x16x16_bf16 v[1:8], v[49:52], v[21:24], v[1:8]
	v_wmma_f32_16x16x16_bf16 v[1:8], v[53:56], v[25:28], v[1:8]
	s_delay_alu instid0(VALU_DEP_1) | instskip(NEXT) | instid1(VALU_DEP_1)
	v_wmma_f32_16x16x16_bf16 v[1:8], v[57:60], v[29:32], v[1:8]
	v_wmma_f32_16x16x16_bf16 v[1:8], v[17:20], v[33:36], v[1:8]
	; sched_barrier mask(0x00000000)
	s_setprio 1
	; sched_barrier mask(0x00000000)
	; sched_barrier mask(0x00000000)
	s_wait_dscnt 0x0
	s_barrier_signal -1
	s_barrier_wait -1
	; sched_barrier mask(0x00000000)
	v_wmma_f32_16x16x16_bf16 v[1:8], v[61:64], v[37:40], v[1:8]
	s_delay_alu instid0(VALU_DEP_1) | instskip(NEXT) | instid1(VALU_DEP_1)
	v_wmma_f32_16x16x16_bf16 v[1:8], v[65:68], v[41:44], v[1:8]
	v_wmma_f32_16x16x16_bf16 v[1:8], v[45:48], v[13:16], v[1:8]
	s_delay_alu instid0(VALU_DEP_1) | instskip(SKIP_1) | instid1(VALU_DEP_1)
	v_wmma_f32_16x16x16_bf16 v[1:8], v[69:72], v[9:12], v[1:8]
	; sched_barrier mask(0x00000000)
	s_setprio 0
	; sched_barrier mask(0x00000000)
	v_bfe_u32 v12, v1, 16, 1
	s_delay_alu instid0(VALU_DEP_2)
	v_bfe_u32 v20, v7, 16, 1
	v_or_b32_e32 v13, 0x400000, v1
	v_bfe_u32 v17, v3, 16, 1
	v_cmp_u_f32_e32 vcc_lo, v1, v1
	v_add3_u32 v12, v12, v1, 0x7fff
	v_lshlrev_b32_e32 v9, 3, v0
	v_add3_u32 v20, v20, v7, 0x7fff
	v_or_b32_e32 v21, 0x400000, v7
	v_lshlrev_b32_e32 v0, 7, v0
	v_bfe_u32 v16, v2, 16, 1
	v_cndmask_b32_e32 v12, v12, v13, vcc_lo
	v_add3_u32 v1, v17, v3, 0x7fff
	v_or_b32_e32 v13, 0x400000, v3
	v_and_b32_e32 v0, 0x780, v0
	v_cmp_u_f32_e32 vcc_lo, v3, v3
	v_and_b32_e32 v10, 56, v92
	v_bfe_u32 v17, v5, 16, 1
	v_bfe_u32 v19, v6, 16, 1
	v_or_b32_e32 v22, 0x400000, v8
	s_wait_alu 0xfffd
	v_cndmask_b32_e32 v1, v1, v13, vcc_lo
	v_lshl_or_b32 v10, v10, 1, v0
	v_add3_u32 v0, v16, v2, 0x7fff
	v_bfe_u32 v16, v4, 16, 1
	v_add3_u32 v13, v17, v5, 0x7fff
	v_cmp_u_f32_e32 vcc_lo, v5, v5
	v_or_b32_e32 v17, 0x400000, v4
	v_or_b32_e32 v18, 0x400000, v2
	v_add3_u32 v3, v16, v4, 0x7fff
	v_or_b32_e32 v16, 0x400000, v5
	v_lshl_or_b32 v11, s15, 4, v91
	s_wait_dscnt 0x0
	s_barrier_signal -1
	s_barrier_wait -1
	s_wait_alu 0xfffd
	v_cndmask_b32_e32 v5, v13, v16, vcc_lo
	v_add3_u32 v16, v19, v6, 0x7fff
	v_or_b32_e32 v19, 0x400000, v6
	v_cmp_u_f32_e32 vcc_lo, v6, v6
	v_and_b32_e32 v9, 56, v9
	v_bfe_u32 v13, v8, 16, 1
	v_mul_lo_u32 v14, v11, s13
	v_cmp_gt_i32_e64 s0, s4, v11
	s_wait_alu 0xfffd
	v_cndmask_b32_e32 v6, v16, v19, vcc_lo
	v_cmp_u_f32_e32 vcc_lo, v7, v7
	v_add3_u32 v13, v13, v8, 0x7fff
	v_or_b32_e32 v15, s6, v9
	s_and_b32 s9, s9, 0xffff
	s_mov_b32 s11, 0x31004000
	s_wait_alu 0xfffd
	v_cndmask_b32_e32 v7, v20, v21, vcc_lo
	v_cmp_u_f32_e32 vcc_lo, v8, v8
	s_wait_alu 0xfffd
	v_cndmask_b32_e32 v8, v13, v22, vcc_lo
	v_cmp_u_f32_e32 vcc_lo, v4, v4
	;; [unrolled: 3-line block ×3, first 2 shown]
	v_perm_b32 v3, v8, v7, 0x7060302
	v_perm_b32 v2, v6, v5, 0x7060302
	s_delay_alu instid0(VALU_DEP_4) | instskip(SKIP_4) | instid1(VALU_DEP_3)
	v_perm_b32 v1, v4, v1, 0x7060302
	s_wait_alu 0xfffd
	v_cndmask_b32_e32 v0, v0, v18, vcc_lo
	v_lshlrev_b32_e32 v4, 1, v9
	v_cmp_gt_i32_e32 vcc_lo, s5, v15
	v_perm_b32 v0, v0, v12, 0x7060302
	s_delay_alu instid0(VALU_DEP_3) | instskip(SKIP_1) | instid1(SALU_CYCLE_1)
	v_lshl_or_b32 v4, v91, 7, v4
	s_and_b32 s2, s0, vcc_lo
	v_cndmask_b32_e64 v5, 0x80000000, 0, s2
	ds_store_b128 v10, v[0:3]
	s_wait_dscnt 0x0
	s_barrier_signal -1
	s_barrier_wait -1
	ds_load_b128 v[0:3], v4
	v_or_b32_e32 v4, 4, v15
	s_delay_alu instid0(VALU_DEP_1) | instskip(SKIP_2) | instid1(VALU_DEP_1)
	v_cmp_gt_i32_e64 s1, s5, v4
	v_add_lshl_u32 v4, v14, v15, 1
	s_and_b32 s0, s0, s1
	v_add_nc_u32_e32 v5, v5, v4
	v_cndmask_b32_e64 v6, 0x80000000, 0, s0
	s_add_co_i32 s0, s5, s3
	s_wait_alu 0xfffe
	s_lshl_b32 s10, s0, 1
	s_delay_alu instid0(VALU_DEP_1)
	v_add_nc_u32_e32 v4, v4, v6
	s_wait_dscnt 0x0
	s_clause 0x1
	buffer_store_b64 v[0:1], v5, s[8:11], null offen
	buffer_store_b64 v[2:3], v4, s[8:11], null offen offset:8
	s_nop 0
	s_sendmsg sendmsg(MSG_DEALLOC_VGPRS)
	s_endpgm
	.section	.rodata,"a",@progbits
	.p2align	6, 0x0
	.amdhsa_kernel _ZN2ck27kernel_gemm_xdl_cshuffle_v3INS_28GridwiseGemm_xdl_cshuffle_v3INS_13tensor_layout4gemm8RowMajorENS3_11ColumnMajorES4_DF16bNS_7pk_i4_tEfDF16bDF16bNS_16tensor_operation12element_wise11PassThroughES9_S9_LNS7_6device18GemmSpecializationE0ELi128ELi16ELi64ELi128ELi8ELi32ELi16ELi16ELi1ELi1ENS_8SequenceIJLi16ELi8ELi1EEEENSC_IJLi1ELi0ELi2EEEESE_Li2ELi8ELi8ELb0ELi0ENSC_IJLi4ELi32ELi1EEEESE_SE_Li2ELi32ELi32ELb0ELi0ELi1ELi1ENSC_IJLi1ELi16ELi1ELi8EEEELi4ELNS_26BlockGemmPipelineSchedulerE1ELNS_24BlockGemmPipelineVersionE1EDF16bDF16bLb0ELb1ELb0ELi0ELb0EEELb1ELNS_25InMemoryDataOperationEnumE0ELi2ELNS_10TailNumberE10EEEvNT_8ArgumentE
		.amdhsa_group_segment_fixed_size 8192
		.amdhsa_private_segment_fixed_size 0
		.amdhsa_kernarg_size 112
		.amdhsa_user_sgpr_count 2
		.amdhsa_user_sgpr_dispatch_ptr 0
		.amdhsa_user_sgpr_queue_ptr 0
		.amdhsa_user_sgpr_kernarg_segment_ptr 1
		.amdhsa_user_sgpr_dispatch_id 0
		.amdhsa_user_sgpr_private_segment_size 0
		.amdhsa_wavefront_size32 1
		.amdhsa_uses_dynamic_stack 0
		.amdhsa_enable_private_segment 0
		.amdhsa_system_sgpr_workgroup_id_x 1
		.amdhsa_system_sgpr_workgroup_id_y 0
		.amdhsa_system_sgpr_workgroup_id_z 1
		.amdhsa_system_sgpr_workgroup_info 0
		.amdhsa_system_vgpr_workitem_id 0
		.amdhsa_next_free_vgpr 149
		.amdhsa_next_free_sgpr 30
		.amdhsa_reserve_vcc 1
		.amdhsa_float_round_mode_32 0
		.amdhsa_float_round_mode_16_64 0
		.amdhsa_float_denorm_mode_32 3
		.amdhsa_float_denorm_mode_16_64 3
		.amdhsa_fp16_overflow 0
		.amdhsa_workgroup_processor_mode 1
		.amdhsa_memory_ordered 1
		.amdhsa_forward_progress 1
		.amdhsa_inst_pref_size 133
		.amdhsa_round_robin_scheduling 0
		.amdhsa_exception_fp_ieee_invalid_op 0
		.amdhsa_exception_fp_denorm_src 0
		.amdhsa_exception_fp_ieee_div_zero 0
		.amdhsa_exception_fp_ieee_overflow 0
		.amdhsa_exception_fp_ieee_underflow 0
		.amdhsa_exception_fp_ieee_inexact 0
		.amdhsa_exception_int_div_zero 0
	.end_amdhsa_kernel
	.section	.text._ZN2ck27kernel_gemm_xdl_cshuffle_v3INS_28GridwiseGemm_xdl_cshuffle_v3INS_13tensor_layout4gemm8RowMajorENS3_11ColumnMajorES4_DF16bNS_7pk_i4_tEfDF16bDF16bNS_16tensor_operation12element_wise11PassThroughES9_S9_LNS7_6device18GemmSpecializationE0ELi128ELi16ELi64ELi128ELi8ELi32ELi16ELi16ELi1ELi1ENS_8SequenceIJLi16ELi8ELi1EEEENSC_IJLi1ELi0ELi2EEEESE_Li2ELi8ELi8ELb0ELi0ENSC_IJLi4ELi32ELi1EEEESE_SE_Li2ELi32ELi32ELb0ELi0ELi1ELi1ENSC_IJLi1ELi16ELi1ELi8EEEELi4ELNS_26BlockGemmPipelineSchedulerE1ELNS_24BlockGemmPipelineVersionE1EDF16bDF16bLb0ELb1ELb0ELi0ELb0EEELb1ELNS_25InMemoryDataOperationEnumE0ELi2ELNS_10TailNumberE10EEEvNT_8ArgumentE,"axG",@progbits,_ZN2ck27kernel_gemm_xdl_cshuffle_v3INS_28GridwiseGemm_xdl_cshuffle_v3INS_13tensor_layout4gemm8RowMajorENS3_11ColumnMajorES4_DF16bNS_7pk_i4_tEfDF16bDF16bNS_16tensor_operation12element_wise11PassThroughES9_S9_LNS7_6device18GemmSpecializationE0ELi128ELi16ELi64ELi128ELi8ELi32ELi16ELi16ELi1ELi1ENS_8SequenceIJLi16ELi8ELi1EEEENSC_IJLi1ELi0ELi2EEEESE_Li2ELi8ELi8ELb0ELi0ENSC_IJLi4ELi32ELi1EEEESE_SE_Li2ELi32ELi32ELb0ELi0ELi1ELi1ENSC_IJLi1ELi16ELi1ELi8EEEELi4ELNS_26BlockGemmPipelineSchedulerE1ELNS_24BlockGemmPipelineVersionE1EDF16bDF16bLb0ELb1ELb0ELi0ELb0EEELb1ELNS_25InMemoryDataOperationEnumE0ELi2ELNS_10TailNumberE10EEEvNT_8ArgumentE,comdat
.Lfunc_end9:
	.size	_ZN2ck27kernel_gemm_xdl_cshuffle_v3INS_28GridwiseGemm_xdl_cshuffle_v3INS_13tensor_layout4gemm8RowMajorENS3_11ColumnMajorES4_DF16bNS_7pk_i4_tEfDF16bDF16bNS_16tensor_operation12element_wise11PassThroughES9_S9_LNS7_6device18GemmSpecializationE0ELi128ELi16ELi64ELi128ELi8ELi32ELi16ELi16ELi1ELi1ENS_8SequenceIJLi16ELi8ELi1EEEENSC_IJLi1ELi0ELi2EEEESE_Li2ELi8ELi8ELb0ELi0ENSC_IJLi4ELi32ELi1EEEESE_SE_Li2ELi32ELi32ELb0ELi0ELi1ELi1ENSC_IJLi1ELi16ELi1ELi8EEEELi4ELNS_26BlockGemmPipelineSchedulerE1ELNS_24BlockGemmPipelineVersionE1EDF16bDF16bLb0ELb1ELb0ELi0ELb0EEELb1ELNS_25InMemoryDataOperationEnumE0ELi2ELNS_10TailNumberE10EEEvNT_8ArgumentE, .Lfunc_end9-_ZN2ck27kernel_gemm_xdl_cshuffle_v3INS_28GridwiseGemm_xdl_cshuffle_v3INS_13tensor_layout4gemm8RowMajorENS3_11ColumnMajorES4_DF16bNS_7pk_i4_tEfDF16bDF16bNS_16tensor_operation12element_wise11PassThroughES9_S9_LNS7_6device18GemmSpecializationE0ELi128ELi16ELi64ELi128ELi8ELi32ELi16ELi16ELi1ELi1ENS_8SequenceIJLi16ELi8ELi1EEEENSC_IJLi1ELi0ELi2EEEESE_Li2ELi8ELi8ELb0ELi0ENSC_IJLi4ELi32ELi1EEEESE_SE_Li2ELi32ELi32ELb0ELi0ELi1ELi1ENSC_IJLi1ELi16ELi1ELi8EEEELi4ELNS_26BlockGemmPipelineSchedulerE1ELNS_24BlockGemmPipelineVersionE1EDF16bDF16bLb0ELb1ELb0ELi0ELb0EEELb1ELNS_25InMemoryDataOperationEnumE0ELi2ELNS_10TailNumberE10EEEvNT_8ArgumentE
                                        ; -- End function
	.set _ZN2ck27kernel_gemm_xdl_cshuffle_v3INS_28GridwiseGemm_xdl_cshuffle_v3INS_13tensor_layout4gemm8RowMajorENS3_11ColumnMajorES4_DF16bNS_7pk_i4_tEfDF16bDF16bNS_16tensor_operation12element_wise11PassThroughES9_S9_LNS7_6device18GemmSpecializationE0ELi128ELi16ELi64ELi128ELi8ELi32ELi16ELi16ELi1ELi1ENS_8SequenceIJLi16ELi8ELi1EEEENSC_IJLi1ELi0ELi2EEEESE_Li2ELi8ELi8ELb0ELi0ENSC_IJLi4ELi32ELi1EEEESE_SE_Li2ELi32ELi32ELb0ELi0ELi1ELi1ENSC_IJLi1ELi16ELi1ELi8EEEELi4ELNS_26BlockGemmPipelineSchedulerE1ELNS_24BlockGemmPipelineVersionE1EDF16bDF16bLb0ELb1ELb0ELi0ELb0EEELb1ELNS_25InMemoryDataOperationEnumE0ELi2ELNS_10TailNumberE10EEEvNT_8ArgumentE.num_vgpr, 149
	.set _ZN2ck27kernel_gemm_xdl_cshuffle_v3INS_28GridwiseGemm_xdl_cshuffle_v3INS_13tensor_layout4gemm8RowMajorENS3_11ColumnMajorES4_DF16bNS_7pk_i4_tEfDF16bDF16bNS_16tensor_operation12element_wise11PassThroughES9_S9_LNS7_6device18GemmSpecializationE0ELi128ELi16ELi64ELi128ELi8ELi32ELi16ELi16ELi1ELi1ENS_8SequenceIJLi16ELi8ELi1EEEENSC_IJLi1ELi0ELi2EEEESE_Li2ELi8ELi8ELb0ELi0ENSC_IJLi4ELi32ELi1EEEESE_SE_Li2ELi32ELi32ELb0ELi0ELi1ELi1ENSC_IJLi1ELi16ELi1ELi8EEEELi4ELNS_26BlockGemmPipelineSchedulerE1ELNS_24BlockGemmPipelineVersionE1EDF16bDF16bLb0ELb1ELb0ELi0ELb0EEELb1ELNS_25InMemoryDataOperationEnumE0ELi2ELNS_10TailNumberE10EEEvNT_8ArgumentE.num_agpr, 0
	.set _ZN2ck27kernel_gemm_xdl_cshuffle_v3INS_28GridwiseGemm_xdl_cshuffle_v3INS_13tensor_layout4gemm8RowMajorENS3_11ColumnMajorES4_DF16bNS_7pk_i4_tEfDF16bDF16bNS_16tensor_operation12element_wise11PassThroughES9_S9_LNS7_6device18GemmSpecializationE0ELi128ELi16ELi64ELi128ELi8ELi32ELi16ELi16ELi1ELi1ENS_8SequenceIJLi16ELi8ELi1EEEENSC_IJLi1ELi0ELi2EEEESE_Li2ELi8ELi8ELb0ELi0ENSC_IJLi4ELi32ELi1EEEESE_SE_Li2ELi32ELi32ELb0ELi0ELi1ELi1ENSC_IJLi1ELi16ELi1ELi8EEEELi4ELNS_26BlockGemmPipelineSchedulerE1ELNS_24BlockGemmPipelineVersionE1EDF16bDF16bLb0ELb1ELb0ELi0ELb0EEELb1ELNS_25InMemoryDataOperationEnumE0ELi2ELNS_10TailNumberE10EEEvNT_8ArgumentE.numbered_sgpr, 30
	.set _ZN2ck27kernel_gemm_xdl_cshuffle_v3INS_28GridwiseGemm_xdl_cshuffle_v3INS_13tensor_layout4gemm8RowMajorENS3_11ColumnMajorES4_DF16bNS_7pk_i4_tEfDF16bDF16bNS_16tensor_operation12element_wise11PassThroughES9_S9_LNS7_6device18GemmSpecializationE0ELi128ELi16ELi64ELi128ELi8ELi32ELi16ELi16ELi1ELi1ENS_8SequenceIJLi16ELi8ELi1EEEENSC_IJLi1ELi0ELi2EEEESE_Li2ELi8ELi8ELb0ELi0ENSC_IJLi4ELi32ELi1EEEESE_SE_Li2ELi32ELi32ELb0ELi0ELi1ELi1ENSC_IJLi1ELi16ELi1ELi8EEEELi4ELNS_26BlockGemmPipelineSchedulerE1ELNS_24BlockGemmPipelineVersionE1EDF16bDF16bLb0ELb1ELb0ELi0ELb0EEELb1ELNS_25InMemoryDataOperationEnumE0ELi2ELNS_10TailNumberE10EEEvNT_8ArgumentE.num_named_barrier, 0
	.set _ZN2ck27kernel_gemm_xdl_cshuffle_v3INS_28GridwiseGemm_xdl_cshuffle_v3INS_13tensor_layout4gemm8RowMajorENS3_11ColumnMajorES4_DF16bNS_7pk_i4_tEfDF16bDF16bNS_16tensor_operation12element_wise11PassThroughES9_S9_LNS7_6device18GemmSpecializationE0ELi128ELi16ELi64ELi128ELi8ELi32ELi16ELi16ELi1ELi1ENS_8SequenceIJLi16ELi8ELi1EEEENSC_IJLi1ELi0ELi2EEEESE_Li2ELi8ELi8ELb0ELi0ENSC_IJLi4ELi32ELi1EEEESE_SE_Li2ELi32ELi32ELb0ELi0ELi1ELi1ENSC_IJLi1ELi16ELi1ELi8EEEELi4ELNS_26BlockGemmPipelineSchedulerE1ELNS_24BlockGemmPipelineVersionE1EDF16bDF16bLb0ELb1ELb0ELi0ELb0EEELb1ELNS_25InMemoryDataOperationEnumE0ELi2ELNS_10TailNumberE10EEEvNT_8ArgumentE.private_seg_size, 0
	.set _ZN2ck27kernel_gemm_xdl_cshuffle_v3INS_28GridwiseGemm_xdl_cshuffle_v3INS_13tensor_layout4gemm8RowMajorENS3_11ColumnMajorES4_DF16bNS_7pk_i4_tEfDF16bDF16bNS_16tensor_operation12element_wise11PassThroughES9_S9_LNS7_6device18GemmSpecializationE0ELi128ELi16ELi64ELi128ELi8ELi32ELi16ELi16ELi1ELi1ENS_8SequenceIJLi16ELi8ELi1EEEENSC_IJLi1ELi0ELi2EEEESE_Li2ELi8ELi8ELb0ELi0ENSC_IJLi4ELi32ELi1EEEESE_SE_Li2ELi32ELi32ELb0ELi0ELi1ELi1ENSC_IJLi1ELi16ELi1ELi8EEEELi4ELNS_26BlockGemmPipelineSchedulerE1ELNS_24BlockGemmPipelineVersionE1EDF16bDF16bLb0ELb1ELb0ELi0ELb0EEELb1ELNS_25InMemoryDataOperationEnumE0ELi2ELNS_10TailNumberE10EEEvNT_8ArgumentE.uses_vcc, 1
	.set _ZN2ck27kernel_gemm_xdl_cshuffle_v3INS_28GridwiseGemm_xdl_cshuffle_v3INS_13tensor_layout4gemm8RowMajorENS3_11ColumnMajorES4_DF16bNS_7pk_i4_tEfDF16bDF16bNS_16tensor_operation12element_wise11PassThroughES9_S9_LNS7_6device18GemmSpecializationE0ELi128ELi16ELi64ELi128ELi8ELi32ELi16ELi16ELi1ELi1ENS_8SequenceIJLi16ELi8ELi1EEEENSC_IJLi1ELi0ELi2EEEESE_Li2ELi8ELi8ELb0ELi0ENSC_IJLi4ELi32ELi1EEEESE_SE_Li2ELi32ELi32ELb0ELi0ELi1ELi1ENSC_IJLi1ELi16ELi1ELi8EEEELi4ELNS_26BlockGemmPipelineSchedulerE1ELNS_24BlockGemmPipelineVersionE1EDF16bDF16bLb0ELb1ELb0ELi0ELb0EEELb1ELNS_25InMemoryDataOperationEnumE0ELi2ELNS_10TailNumberE10EEEvNT_8ArgumentE.uses_flat_scratch, 0
	.set _ZN2ck27kernel_gemm_xdl_cshuffle_v3INS_28GridwiseGemm_xdl_cshuffle_v3INS_13tensor_layout4gemm8RowMajorENS3_11ColumnMajorES4_DF16bNS_7pk_i4_tEfDF16bDF16bNS_16tensor_operation12element_wise11PassThroughES9_S9_LNS7_6device18GemmSpecializationE0ELi128ELi16ELi64ELi128ELi8ELi32ELi16ELi16ELi1ELi1ENS_8SequenceIJLi16ELi8ELi1EEEENSC_IJLi1ELi0ELi2EEEESE_Li2ELi8ELi8ELb0ELi0ENSC_IJLi4ELi32ELi1EEEESE_SE_Li2ELi32ELi32ELb0ELi0ELi1ELi1ENSC_IJLi1ELi16ELi1ELi8EEEELi4ELNS_26BlockGemmPipelineSchedulerE1ELNS_24BlockGemmPipelineVersionE1EDF16bDF16bLb0ELb1ELb0ELi0ELb0EEELb1ELNS_25InMemoryDataOperationEnumE0ELi2ELNS_10TailNumberE10EEEvNT_8ArgumentE.has_dyn_sized_stack, 0
	.set _ZN2ck27kernel_gemm_xdl_cshuffle_v3INS_28GridwiseGemm_xdl_cshuffle_v3INS_13tensor_layout4gemm8RowMajorENS3_11ColumnMajorES4_DF16bNS_7pk_i4_tEfDF16bDF16bNS_16tensor_operation12element_wise11PassThroughES9_S9_LNS7_6device18GemmSpecializationE0ELi128ELi16ELi64ELi128ELi8ELi32ELi16ELi16ELi1ELi1ENS_8SequenceIJLi16ELi8ELi1EEEENSC_IJLi1ELi0ELi2EEEESE_Li2ELi8ELi8ELb0ELi0ENSC_IJLi4ELi32ELi1EEEESE_SE_Li2ELi32ELi32ELb0ELi0ELi1ELi1ENSC_IJLi1ELi16ELi1ELi8EEEELi4ELNS_26BlockGemmPipelineSchedulerE1ELNS_24BlockGemmPipelineVersionE1EDF16bDF16bLb0ELb1ELb0ELi0ELb0EEELb1ELNS_25InMemoryDataOperationEnumE0ELi2ELNS_10TailNumberE10EEEvNT_8ArgumentE.has_recursion, 0
	.set _ZN2ck27kernel_gemm_xdl_cshuffle_v3INS_28GridwiseGemm_xdl_cshuffle_v3INS_13tensor_layout4gemm8RowMajorENS3_11ColumnMajorES4_DF16bNS_7pk_i4_tEfDF16bDF16bNS_16tensor_operation12element_wise11PassThroughES9_S9_LNS7_6device18GemmSpecializationE0ELi128ELi16ELi64ELi128ELi8ELi32ELi16ELi16ELi1ELi1ENS_8SequenceIJLi16ELi8ELi1EEEENSC_IJLi1ELi0ELi2EEEESE_Li2ELi8ELi8ELb0ELi0ENSC_IJLi4ELi32ELi1EEEESE_SE_Li2ELi32ELi32ELb0ELi0ELi1ELi1ENSC_IJLi1ELi16ELi1ELi8EEEELi4ELNS_26BlockGemmPipelineSchedulerE1ELNS_24BlockGemmPipelineVersionE1EDF16bDF16bLb0ELb1ELb0ELi0ELb0EEELb1ELNS_25InMemoryDataOperationEnumE0ELi2ELNS_10TailNumberE10EEEvNT_8ArgumentE.has_indirect_call, 0
	.section	.AMDGPU.csdata,"",@progbits
; Kernel info:
; codeLenInByte = 17024
; TotalNumSgprs: 32
; NumVgprs: 149
; ScratchSize: 0
; MemoryBound: 0
; FloatMode: 240
; IeeeMode: 1
; LDSByteSize: 8192 bytes/workgroup (compile time only)
; SGPRBlocks: 0
; VGPRBlocks: 18
; NumSGPRsForWavesPerEU: 32
; NumVGPRsForWavesPerEU: 149
; Occupancy: 9
; WaveLimiterHint : 0
; COMPUTE_PGM_RSRC2:SCRATCH_EN: 0
; COMPUTE_PGM_RSRC2:USER_SGPR: 2
; COMPUTE_PGM_RSRC2:TRAP_HANDLER: 0
; COMPUTE_PGM_RSRC2:TGID_X_EN: 1
; COMPUTE_PGM_RSRC2:TGID_Y_EN: 0
; COMPUTE_PGM_RSRC2:TGID_Z_EN: 1
; COMPUTE_PGM_RSRC2:TIDIG_COMP_CNT: 0
	.section	.text._ZN2ck27kernel_gemm_xdl_cshuffle_v3INS_28GridwiseGemm_xdl_cshuffle_v3INS_13tensor_layout4gemm8RowMajorENS3_11ColumnMajorES4_DF16bNS_7pk_i4_tEfDF16bDF16bNS_16tensor_operation12element_wise11PassThroughES9_S9_LNS7_6device18GemmSpecializationE0ELi128ELi16ELi64ELi128ELi8ELi32ELi16ELi16ELi1ELi1ENS_8SequenceIJLi16ELi8ELi1EEEENSC_IJLi1ELi0ELi2EEEESE_Li2ELi8ELi8ELb0ELi0ENSC_IJLi4ELi32ELi1EEEESE_SE_Li2ELi32ELi32ELb0ELi0ELi1ELi1ENSC_IJLi1ELi16ELi1ELi8EEEELi4ELNS_26BlockGemmPipelineSchedulerE1ELNS_24BlockGemmPipelineVersionE1EDF16bDF16bLb0ELb1ELb0ELi0ELb0EEELb1ELNS_25InMemoryDataOperationEnumE0ELi2ELNS_10TailNumberE3EEEvNT_8ArgumentE,"axG",@progbits,_ZN2ck27kernel_gemm_xdl_cshuffle_v3INS_28GridwiseGemm_xdl_cshuffle_v3INS_13tensor_layout4gemm8RowMajorENS3_11ColumnMajorES4_DF16bNS_7pk_i4_tEfDF16bDF16bNS_16tensor_operation12element_wise11PassThroughES9_S9_LNS7_6device18GemmSpecializationE0ELi128ELi16ELi64ELi128ELi8ELi32ELi16ELi16ELi1ELi1ENS_8SequenceIJLi16ELi8ELi1EEEENSC_IJLi1ELi0ELi2EEEESE_Li2ELi8ELi8ELb0ELi0ENSC_IJLi4ELi32ELi1EEEESE_SE_Li2ELi32ELi32ELb0ELi0ELi1ELi1ENSC_IJLi1ELi16ELi1ELi8EEEELi4ELNS_26BlockGemmPipelineSchedulerE1ELNS_24BlockGemmPipelineVersionE1EDF16bDF16bLb0ELb1ELb0ELi0ELb0EEELb1ELNS_25InMemoryDataOperationEnumE0ELi2ELNS_10TailNumberE3EEEvNT_8ArgumentE,comdat
	.protected	_ZN2ck27kernel_gemm_xdl_cshuffle_v3INS_28GridwiseGemm_xdl_cshuffle_v3INS_13tensor_layout4gemm8RowMajorENS3_11ColumnMajorES4_DF16bNS_7pk_i4_tEfDF16bDF16bNS_16tensor_operation12element_wise11PassThroughES9_S9_LNS7_6device18GemmSpecializationE0ELi128ELi16ELi64ELi128ELi8ELi32ELi16ELi16ELi1ELi1ENS_8SequenceIJLi16ELi8ELi1EEEENSC_IJLi1ELi0ELi2EEEESE_Li2ELi8ELi8ELb0ELi0ENSC_IJLi4ELi32ELi1EEEESE_SE_Li2ELi32ELi32ELb0ELi0ELi1ELi1ENSC_IJLi1ELi16ELi1ELi8EEEELi4ELNS_26BlockGemmPipelineSchedulerE1ELNS_24BlockGemmPipelineVersionE1EDF16bDF16bLb0ELb1ELb0ELi0ELb0EEELb1ELNS_25InMemoryDataOperationEnumE0ELi2ELNS_10TailNumberE3EEEvNT_8ArgumentE ; -- Begin function _ZN2ck27kernel_gemm_xdl_cshuffle_v3INS_28GridwiseGemm_xdl_cshuffle_v3INS_13tensor_layout4gemm8RowMajorENS3_11ColumnMajorES4_DF16bNS_7pk_i4_tEfDF16bDF16bNS_16tensor_operation12element_wise11PassThroughES9_S9_LNS7_6device18GemmSpecializationE0ELi128ELi16ELi64ELi128ELi8ELi32ELi16ELi16ELi1ELi1ENS_8SequenceIJLi16ELi8ELi1EEEENSC_IJLi1ELi0ELi2EEEESE_Li2ELi8ELi8ELb0ELi0ENSC_IJLi4ELi32ELi1EEEESE_SE_Li2ELi32ELi32ELb0ELi0ELi1ELi1ENSC_IJLi1ELi16ELi1ELi8EEEELi4ELNS_26BlockGemmPipelineSchedulerE1ELNS_24BlockGemmPipelineVersionE1EDF16bDF16bLb0ELb1ELb0ELi0ELb0EEELb1ELNS_25InMemoryDataOperationEnumE0ELi2ELNS_10TailNumberE3EEEvNT_8ArgumentE
	.globl	_ZN2ck27kernel_gemm_xdl_cshuffle_v3INS_28GridwiseGemm_xdl_cshuffle_v3INS_13tensor_layout4gemm8RowMajorENS3_11ColumnMajorES4_DF16bNS_7pk_i4_tEfDF16bDF16bNS_16tensor_operation12element_wise11PassThroughES9_S9_LNS7_6device18GemmSpecializationE0ELi128ELi16ELi64ELi128ELi8ELi32ELi16ELi16ELi1ELi1ENS_8SequenceIJLi16ELi8ELi1EEEENSC_IJLi1ELi0ELi2EEEESE_Li2ELi8ELi8ELb0ELi0ENSC_IJLi4ELi32ELi1EEEESE_SE_Li2ELi32ELi32ELb0ELi0ELi1ELi1ENSC_IJLi1ELi16ELi1ELi8EEEELi4ELNS_26BlockGemmPipelineSchedulerE1ELNS_24BlockGemmPipelineVersionE1EDF16bDF16bLb0ELb1ELb0ELi0ELb0EEELb1ELNS_25InMemoryDataOperationEnumE0ELi2ELNS_10TailNumberE3EEEvNT_8ArgumentE
	.p2align	8
	.type	_ZN2ck27kernel_gemm_xdl_cshuffle_v3INS_28GridwiseGemm_xdl_cshuffle_v3INS_13tensor_layout4gemm8RowMajorENS3_11ColumnMajorES4_DF16bNS_7pk_i4_tEfDF16bDF16bNS_16tensor_operation12element_wise11PassThroughES9_S9_LNS7_6device18GemmSpecializationE0ELi128ELi16ELi64ELi128ELi8ELi32ELi16ELi16ELi1ELi1ENS_8SequenceIJLi16ELi8ELi1EEEENSC_IJLi1ELi0ELi2EEEESE_Li2ELi8ELi8ELb0ELi0ENSC_IJLi4ELi32ELi1EEEESE_SE_Li2ELi32ELi32ELb0ELi0ELi1ELi1ENSC_IJLi1ELi16ELi1ELi8EEEELi4ELNS_26BlockGemmPipelineSchedulerE1ELNS_24BlockGemmPipelineVersionE1EDF16bDF16bLb0ELb1ELb0ELi0ELb0EEELb1ELNS_25InMemoryDataOperationEnumE0ELi2ELNS_10TailNumberE3EEEvNT_8ArgumentE,@function
_ZN2ck27kernel_gemm_xdl_cshuffle_v3INS_28GridwiseGemm_xdl_cshuffle_v3INS_13tensor_layout4gemm8RowMajorENS3_11ColumnMajorES4_DF16bNS_7pk_i4_tEfDF16bDF16bNS_16tensor_operation12element_wise11PassThroughES9_S9_LNS7_6device18GemmSpecializationE0ELi128ELi16ELi64ELi128ELi8ELi32ELi16ELi16ELi1ELi1ENS_8SequenceIJLi16ELi8ELi1EEEENSC_IJLi1ELi0ELi2EEEESE_Li2ELi8ELi8ELb0ELi0ENSC_IJLi4ELi32ELi1EEEESE_SE_Li2ELi32ELi32ELb0ELi0ELi1ELi1ENSC_IJLi1ELi16ELi1ELi8EEEELi4ELNS_26BlockGemmPipelineSchedulerE1ELNS_24BlockGemmPipelineVersionE1EDF16bDF16bLb0ELb1ELb0ELi0ELb0EEELb1ELNS_25InMemoryDataOperationEnumE0ELi2ELNS_10TailNumberE3EEEvNT_8ArgumentE: ; @_ZN2ck27kernel_gemm_xdl_cshuffle_v3INS_28GridwiseGemm_xdl_cshuffle_v3INS_13tensor_layout4gemm8RowMajorENS3_11ColumnMajorES4_DF16bNS_7pk_i4_tEfDF16bDF16bNS_16tensor_operation12element_wise11PassThroughES9_S9_LNS7_6device18GemmSpecializationE0ELi128ELi16ELi64ELi128ELi8ELi32ELi16ELi16ELi1ELi1ENS_8SequenceIJLi16ELi8ELi1EEEENSC_IJLi1ELi0ELi2EEEESE_Li2ELi8ELi8ELb0ELi0ENSC_IJLi4ELi32ELi1EEEESE_SE_Li2ELi32ELi32ELb0ELi0ELi1ELi1ENSC_IJLi1ELi16ELi1ELi8EEEELi4ELNS_26BlockGemmPipelineSchedulerE1ELNS_24BlockGemmPipelineVersionE1EDF16bDF16bLb0ELb1ELb0ELi0ELb0EEELb1ELNS_25InMemoryDataOperationEnumE0ELi2ELNS_10TailNumberE3EEEvNT_8ArgumentE
; %bb.0:
	s_clause 0x4
	s_load_b96 s[12:14], s[0:1], 0x20
	s_load_b96 s[16:18], s[0:1], 0x60
	s_load_b128 s[4:7], s[0:1], 0x10
	s_load_b32 s22, s[0:1], 0x3c
	s_load_b128 s[8:11], s[0:1], 0x50
	s_lshr_b32 s2, ttmp7, 16
	s_mov_b32 s23, ttmp9
	s_mov_b64 s[20:21], 0
	s_wait_kmcnt 0x0
	s_cmp_gt_i32 s14, 1
	s_cselect_b32 s3, -1, 0
	s_bitcmp1_b32 s18, 0
	s_cselect_b32 s15, -1, 0
	s_delay_alu instid0(SALU_CYCLE_1) | instskip(NEXT) | instid1(SALU_CYCLE_1)
	s_and_b32 s3, s3, s15
	s_and_not1_b32 vcc_lo, exec_lo, s3
	s_cbranch_vccnz .LBB10_2
; %bb.1:
	s_mul_i32 s3, s4, s2
	s_delay_alu instid0(SALU_CYCLE_1) | instskip(NEXT) | instid1(SALU_CYCLE_1)
	s_mul_i32 s20, s3, s5
	s_ashr_i32 s21, s20, 31
.LBB10_2:
	s_load_b32 s3, s[0:1], 0x34
	s_add_co_i32 s19, s4, -1
	s_mov_b32 s18, 0
	s_cmp_lt_u32 s19, 16
	s_cbranch_scc1 .LBB10_6
; %bb.3:
	s_add_co_i32 s0, s5, -1
	s_delay_alu instid0(SALU_CYCLE_1)
	s_cmp_lt_u32 s0, 64
	s_mov_b32 s0, 0
	s_cbranch_scc1 .LBB10_10
; %bb.4:
	s_add_co_i32 s0, s4, 15
	s_add_co_i32 s1, s5, 63
	s_ashr_i32 s15, s0, 31
	s_ashr_i32 s24, s1, 31
	s_lshr_b32 s15, s15, 28
	s_lshr_b32 s24, s24, 26
	s_add_co_i32 s0, s0, s15
	s_add_co_i32 s15, s1, s24
	s_ashr_i32 s1, s0, 4
	s_ashr_i32 s0, s15, 6
	s_ashr_i32 s26, s23, 31
	s_mul_i32 s15, s0, s1
	s_delay_alu instid0(SALU_CYCLE_1) | instskip(NEXT) | instid1(SALU_CYCLE_1)
	s_add_co_i32 s24, s15, 7
	s_ashr_i32 s25, s24, 31
	s_delay_alu instid0(SALU_CYCLE_1) | instskip(NEXT) | instid1(SALU_CYCLE_1)
	s_lshr_b32 s25, s25, 29
	s_add_co_i32 s25, s24, s25
	s_lshr_b32 s24, s26, 29
	s_and_b32 s27, s25, -8
	s_add_co_i32 s26, s23, s24
	s_sub_co_i32 s24, s15, s27
	s_and_b32 s15, s26, -8
	s_add_co_i32 s24, s24, 8
	s_sub_co_i32 s23, s23, s15
	s_ashr_i32 s25, s25, 3
	s_cmp_gt_i32 s23, s24
	s_cbranch_scc1 .LBB10_7
; %bb.5:
	s_mul_i32 s15, s25, s23
	s_ashr_i32 s26, s26, 3
	s_cbranch_execz .LBB10_8
	s_branch .LBB10_9
.LBB10_6:
	s_mov_b32 s15, s18
	s_branch .LBB10_11
.LBB10_7:
                                        ; implicit-def: $sgpr15
	s_ashr_i32 s26, s26, 3
.LBB10_8:
	s_add_co_i32 s15, s25, -1
	s_delay_alu instid0(SALU_CYCLE_1) | instskip(NEXT) | instid1(SALU_CYCLE_1)
	s_mul_i32 s15, s15, s23
	s_add_co_i32 s15, s24, s15
.LBB10_9:
	s_abs_i32 s23, s0
	s_add_co_i32 s15, s15, s26
	s_cvt_f32_u32 s24, s23
	s_sub_co_i32 s25, 0, s23
	s_abs_i32 s26, s15
	s_delay_alu instid0(SALU_CYCLE_1) | instskip(NEXT) | instid1(TRANS32_DEP_1)
	v_rcp_iflag_f32_e32 v1, s24
	v_readfirstlane_b32 s24, v1
	s_mul_f32 s24, s24, 0x4f7ffffe
	s_wait_alu 0xfffe
	s_delay_alu instid0(SALU_CYCLE_2) | instskip(SKIP_1) | instid1(SALU_CYCLE_2)
	s_cvt_u32_f32 s24, s24
	s_wait_alu 0xfffe
	s_mul_i32 s25, s25, s24
	s_wait_alu 0xfffe
	s_mul_hi_u32 s25, s24, s25
	s_wait_alu 0xfffe
	s_add_co_i32 s24, s24, s25
	s_xor_b32 s25, s15, s0
	s_wait_alu 0xfffe
	s_mul_hi_u32 s24, s26, s24
	s_ashr_i32 s25, s25, 31
	s_wait_alu 0xfffe
	s_mul_i32 s27, s24, s23
	s_delay_alu instid0(SALU_CYCLE_1)
	s_sub_co_i32 s26, s26, s27
	s_add_co_i32 s27, s24, 1
	s_sub_co_i32 s28, s26, s23
	s_cmp_ge_u32 s26, s23
	s_cselect_b32 s24, s27, s24
	s_cselect_b32 s26, s28, s26
	s_wait_alu 0xfffe
	s_add_co_i32 s27, s24, 1
	s_cmp_ge_u32 s26, s23
	s_cselect_b32 s23, s27, s24
	s_lshr_b32 s24, s1, 30
	s_xor_b32 s23, s23, s25
	s_wait_alu 0xfffe
	s_add_co_i32 s24, s1, s24
	s_sub_co_i32 s23, s23, s25
	s_wait_alu 0xfffe
	s_and_b32 s24, s24, -4
	s_mul_i32 s25, s23, s0
	s_wait_alu 0xfffe
	s_sub_co_i32 s1, s1, s24
	s_sub_co_i32 s15, s15, s25
	s_cmp_ge_i32 s23, s24
	s_cselect_b32 s1, s1, 4
	s_ashr_i32 s26, s23, 31
	s_abs_i32 s24, s1
	s_lshr_b32 s26, s26, 30
	s_wait_alu 0xfffe
	s_cvt_f32_u32 s25, s24
	s_add_co_i32 s26, s23, s26
	s_sub_co_i32 s27, 0, s24
	s_and_b32 s26, s26, -4
	s_wait_alu 0xfffe
	v_rcp_iflag_f32_e32 v1, s25
	s_sub_co_i32 s26, s23, s26
	s_delay_alu instid0(SALU_CYCLE_1) | instskip(NEXT) | instid1(SALU_CYCLE_1)
	s_mul_i32 s0, s26, s0
	s_add_co_i32 s15, s0, s15
	s_delay_alu instid0(TRANS32_DEP_1) | instskip(SKIP_2) | instid1(SALU_CYCLE_2)
	v_readfirstlane_b32 s25, v1
	s_mul_f32 s25, s25, 0x4f7ffffe
	s_wait_alu 0xfffe
	s_cvt_u32_f32 s25, s25
	s_wait_alu 0xfffe
	s_delay_alu instid0(SALU_CYCLE_2) | instskip(NEXT) | instid1(SALU_CYCLE_1)
	s_mul_i32 s27, s27, s25
	s_mul_hi_u32 s0, s25, s27
	s_abs_i32 s27, s15
	s_add_co_i32 s25, s25, s0
	s_wait_alu 0xfffe
	s_mul_hi_u32 s0, s27, s25
	s_xor_b32 s25, s15, s1
	s_mul_i32 s28, s0, s24
	s_wait_alu 0xfffe
	s_ashr_i32 s25, s25, 31
	s_sub_co_i32 s27, s27, s28
	s_add_co_i32 s28, s0, 1
	s_sub_co_i32 s29, s27, s24
	s_cmp_ge_u32 s27, s24
	s_cselect_b32 s0, s28, s0
	s_cselect_b32 s27, s29, s27
	s_add_co_i32 s28, s0, 1
	s_cmp_ge_u32 s27, s24
	s_cselect_b32 s0, s28, s0
	s_wait_alu 0xfffe
	s_xor_b32 s0, s0, s25
	s_delay_alu instid0(SALU_CYCLE_1) | instskip(NEXT) | instid1(SALU_CYCLE_1)
	s_sub_co_i32 s0, s0, s25
	s_mul_i32 s1, s0, s1
	s_delay_alu instid0(SALU_CYCLE_1) | instskip(NEXT) | instid1(SALU_CYCLE_1)
	s_sub_co_i32 s1, s15, s1
	s_add_co_i32 s1, s1, s23
	s_delay_alu instid0(SALU_CYCLE_1)
	s_sub_co_i32 s23, s1, s26
.LBB10_10:
	s_delay_alu instid0(SALU_CYCLE_1)
	s_mov_b32 s15, s23
	s_mov_b32 s23, s0
.LBB10_11:
	v_lshrrev_b32_e32 v91, 3, v0
	s_wait_kmcnt 0x0
	s_mul_i32 s0, s3, s2
	s_ashr_i32 s25, s12, 31
	s_ashr_i32 s1, s0, 31
	s_mul_i32 s24, s0, s5
	v_dual_mov_b32 v58, 3 :: v_dual_and_b32 v53, 14, v91
	s_lshl_b64 s[0:1], s[0:1], 1
	s_wait_alu 0xfffe
	s_lshr_b32 s25, s25, 25
	s_add_nc_u64 s[0:1], s[8:9], s[0:1]
	v_lshl_or_b32 v1, s15, 4, v53
	s_wait_alu 0xfffe
	s_add_co_i32 s8, s12, s25
	s_lshr_b32 s24, s24, 1
	s_ashr_i32 s26, s8, 7
	s_add_co_i32 s8, s14, -1
	v_mul_lo_u32 v54, v1, s7
	s_mul_i32 s9, s8, s3
	s_lshl_b32 s12, s5, 7
	s_sub_co_i32 s6, s6, s9
	v_lshrrev_b32_e32 v92, 1, v0
	v_and_b32_e32 v2, 3, v0
	v_and_b32_e32 v103, 15, v0
	s_cmp_lt_u32 s2, s8
	s_mov_b32 s2, s7
	s_wait_alu 0xfffe
	s_cselect_b32 s8, s3, s6
	s_lshl_b32 s6, s23, 6
	v_lshlrev_b32_e32 v3, 5, v2
	s_wait_alu 0xfffe
	v_and_or_b32 v1, v92, 62, s6
	v_lshl_add_u32 v4, v103, 3, v54
	s_mov_b32 s3, s18
	s_and_b32 s1, s1, 0xffff
	s_mul_u64 s[2:3], s[18:19], s[2:3]
	v_lshl_or_b32 v1, v1, 7, v3
	v_lshlrev_b32_e32 v3, 1, v4
	s_add_co_i32 s8, s8, s3
	v_add_lshl_u32 v9, v4, s7, 1
	s_lshl_b32 s2, s8, 1
	s_mov_b32 s3, 0x31004000
	s_mov_b32 s25, s18
	s_clause 0x1
	buffer_load_b128 v[5:8], v3, s[0:3], null offen
	buffer_load_b128 v[41:44], v9, s[0:3], null offen
	v_ashrrev_i32_e32 v3, 1, v1
	v_add_nc_u32_e32 v9, 0x80, v4
	v_add_nc_u32_e32 v1, s12, v1
	s_add_nc_u64 s[8:9], s[10:11], s[24:25]
	s_mul_i32 s10, s5, s26
	s_and_b32 s9, s9, 0xffff
	s_lshl_b32 s10, s10, 6
	s_mov_b32 s11, s3
	s_clause 0x1
	buffer_load_b128 v[45:48], v3, s[8:11], null offen
	buffer_load_b128 v[49:52], v3, s[8:11], null offen offset:64
	v_lshlrev_b32_e32 v3, 1, v9
	v_add_nc_u32_e32 v55, s12, v1
	v_add_lshl_u32 v9, v9, s7, 1
	v_add_nc_u32_e32 v10, 0x80, v1
	v_add_nc_u32_e32 v4, 0x100, v4
	s_clause 0x1
	buffer_load_b128 v[21:24], v3, s[0:3], null offen
	buffer_load_b128 v[17:20], v9, s[0:3], null offen
	v_ashrrev_i32_e32 v1, 1, v1
	v_add_nc_u32_e32 v3, 0x80, v55
	v_ashrrev_i32_e32 v9, 1, v10
	v_lshlrev_b32_e32 v25, 1, v4
	v_add_lshl_u32 v4, v4, s7, 1
	v_ashrrev_i32_e32 v33, 1, v55
	v_ashrrev_i32_e32 v3, 1, v3
	s_clause 0x1
	buffer_load_b128 v[13:16], v1, s[8:11], null offen
	buffer_load_b128 v[9:12], v9, s[8:11], null offen
	s_clause 0x1
	buffer_load_b128 v[25:28], v25, s[0:3], null offen
	buffer_load_b128 v[29:32], v4, s[0:3], null offen
	;; [unrolled: 3-line block ×3, first 2 shown]
	v_dual_mov_b32 v1, 0 :: v_dual_lshlrev_b32 v4, 2, v0
	v_bfe_u32 v56, v0, 2, 3
	v_lshlrev_b32_e32 v57, 1, v2
	v_lshrrev_b32_e32 v3, 2, v0
	v_or_b32_e32 v104, 12, v2
	v_and_b32_e32 v60, 64, v4
	v_or_b32_e32 v105, 1, v91
	v_xor_b32_e32 v64, v57, v56
	v_or_b32_e32 v57, 1, v57
	v_mov_b32_e32 v2, v1
	v_lshrrev_b32_e32 v65, 3, v60
	v_lshrrev_b32_e32 v66, 5, v60
	;; [unrolled: 1-line block ×3, first 2 shown]
	v_or_b32_e32 v60, 32, v60
	v_and_or_b32 v62, v92, 48, v103
	v_xor_b32_e32 v56, v57, v56
	v_lshlrev_b32_e32 v59, 8, v3
	v_and_or_b32 v68, v0, 1, v68
	v_lshrrev_b32_e32 v72, 3, v60
	v_lshrrev_b32_e32 v60, 5, v60
	v_xor_b32_e32 v108, v53, v103
	v_lshlrev_b32_e32 v63, 7, v53
	v_lshrrev_b32_e32 v67, 1, v62
	v_bfe_u32 v62, v62, 1, 3
	v_sub_nc_u32_e32 v60, v60, v66
	v_or_b32_e32 v69, 1, v53
	v_sub_nc_u32_e32 v53, v105, v53
	v_sub_nc_u32_e32 v66, v56, v64
	;; [unrolled: 1-line block ×3, first 2 shown]
	v_lshl_add_u32 v60, v60, 1, v68
	v_lshlrev_b32_e32 v61, 8, v103
	v_lshl_or_b32 v107, v64, 5, v59
	v_xor_b32_e32 v59, v65, v103
	v_lshlrev_b32_e32 v67, 8, v67
	v_xor_b32_e32 v69, v69, v103
	v_or_b32_e32 v57, 1, v65
	v_or_b32_e32 v70, 2, v65
	;; [unrolled: 1-line block ×6, first 2 shown]
	v_lshlrev_b32_e32 v109, 7, v53
	v_add_nc_u32_e32 v110, -1, v53
	v_xor_b32_e32 v53, v62, v68
	v_lshlrev_b32_e32 v113, 5, v56
	v_xor_b32_e32 v56, v60, v62
	v_lshl_or_b32 v63, v108, 3, v63
	v_lshl_or_b32 v94, v59, 4, v61
	v_sub_nc_u32_e32 v61, v69, v108
	v_sub_nc_u32_e32 v69, v108, v69
	v_xor_b32_e32 v57, v57, v103
	v_xor_b32_e32 v70, v70, v103
	;; [unrolled: 1-line block ×7, first 2 shown]
	v_add_nc_u32_e32 v64, s7, v54
	v_lshlrev_b32_e32 v111, 1, v54
	v_lshl_or_b32 v54, v53, 5, v67
	v_lshlrev_b32_e32 v112, 5, v66
	v_sub_nc_u32_e32 v53, v56, v53
	v_lshlrev_b32_e32 v75, 1, v63
	s_ashr_i32 s14, s22, 31
	v_lshlrev_b32_e32 v67, 3, v61
	v_lshlrev_b32_e32 v68, 3, v69
	v_sub_nc_u32_e32 v57, v57, v59
	v_sub_nc_u32_e32 v66, v70, v59
	;; [unrolled: 1-line block ×7, first 2 shown]
	v_add_nc_u32_e32 v60, v112, v107
	v_lshl_add_u32 v53, v53, 5, v54
	v_lshl_add_u32 v69, v61, 4, v75
	s_wait_alu 0xfffe
	s_lshr_b32 s14, s14, 28
	v_lshrrev_b32_e32 v76, 1, v107
	s_wait_alu 0xfffe
	s_add_co_i32 s22, s22, s14
	v_dual_mov_b32 v3, v1 :: v_dual_lshlrev_b32 v106, 4, v103
	v_mov_b32_e32 v4, v1
	v_lshl_add_u32 v114, v64, 1, 0x500
	v_add3_u32 v61, v67, v63, v68
	v_lshl_add_u32 v95, v57, 4, v94
	v_lshl_add_u32 v96, v66, 4, v94
	;; [unrolled: 1-line block ×7, first 2 shown]
	v_lshrrev_b32_e32 v102, 1, v54
	v_add_nc_u32_e32 v57, s12, v55
	v_ashrrev_i32_e32 v54, 1, v60
	v_ashrrev_i32_e32 v93, 1, v53
	s_ashr_i32 s14, s22, 4
	s_mov_b32 s7, s18
	s_wait_alu 0xfffe
	s_add_co_i32 s14, s14, -3
	s_wait_loadcnt 0xb
	ds_store_b128 v75, v[5:8]
	s_wait_loadcnt 0xa
	ds_store_b128 v69, v[41:44] offset:256
	s_wait_loadcnt 0x9
	ds_store_b128 v76, v[45:48] offset:4096
	v_dual_mov_b32 v5, v1 :: v_dual_mov_b32 v6, v1
	v_dual_mov_b32 v7, v1 :: v_dual_mov_b32 v8, v1
	s_wait_loadcnt 0x8
	ds_store_b128 v54, v[49:52] offset:4096
.LBB10_12:                              ; =>This Inner Loop Header: Depth=1
	s_wait_dscnt 0x0
	s_barrier_signal -1
	s_barrier_wait -1
	ds_load_b128 v[49:52], v102 offset:4096
	ds_load_b128 v[53:56], v94
	ds_load_b128 v[62:65], v95
	ds_load_b128 v[66:69], v96
	ds_load_b128 v[70:73], v97
	ds_load_b128 v[74:77], v98
	ds_load_b128 v[78:81], v99
	ds_load_b128 v[45:48], v100
	ds_load_b128 v[41:44], v101
	ds_load_b128 v[82:85], v93 offset:4096
	s_wait_dscnt 0x9
	v_lshrrev_b32_e32 v60, 4, v49
	v_and_or_b32 v59, v49, 15, 0x4b000000
	v_lshrrev_b32_e32 v86, 8, v49
	v_lshrrev_b32_e32 v87, 12, v49
	v_ashrrev_i32_e32 v49, 16, v49
	v_and_or_b32 v60, v60, 15, 0x4b000000
	v_add_f32_e32 v59, 0xcb000008, v59
	v_and_or_b32 v86, v86, 15, 0x4b000000
	v_and_or_b32 v87, v87, 15, 0x4b000000
	v_lshrrev_b32_e32 v88, 4, v49
	v_and_or_b32 v116, v49, 15, 0x4b000000
	v_lshrrev_b32_e32 v117, 8, v49
	v_lshrrev_b32_e32 v49, 12, v49
	v_add_f32_e32 v60, 0xcb000008, v60
	v_and_or_b32 v88, v88, 15, 0x4b000000
	v_lshrrev_b32_e32 v89, 4, v50
	v_lshrrev_b32_e32 v90, 8, v50
	v_and_or_b32 v49, v49, 15, 0x4b000000
	v_add_f32_e32 v118, 0xcb000008, v86
	v_add_f32_e32 v86, 0xcb000008, v87
	v_lshrrev_b32_e32 v60, 16, v60
	v_lshrrev_b32_e32 v115, 12, v50
	v_and_or_b32 v87, v117, 15, 0x4b000000
	v_add_f32_e32 v88, 0xcb000008, v88
	v_lshrrev_b32_e32 v117, 16, v86
	v_and_or_b32 v86, 0xffff0000, v59, v60
	v_and_or_b32 v59, v50, 15, 0x4b000000
	v_ashrrev_i32_e32 v50, 16, v50
	v_dual_add_f32 v116, 0xcb000008, v116 :: v_dual_add_f32 v49, 0xcb000008, v49
	v_add_f32_e32 v119, 0xcb000008, v87
	v_lshrrev_b32_e32 v88, 16, v88
	v_and_or_b32 v60, v89, 15, 0x4b000000
	v_and_or_b32 v89, v90, 15, 0x4b000000
	;; [unrolled: 1-line block ×3, first 2 shown]
	v_lshrrev_b32_e32 v115, 4, v50
	v_and_or_b32 v87, 0xffff0000, v118, v117
	v_lshrrev_b32_e32 v49, 16, v49
	v_add_f32_e32 v59, 0xcb000008, v59
	v_and_or_b32 v88, 0xffff0000, v116, v88
	v_add_f32_e32 v60, 0xcb000008, v60
	v_lshrrev_b32_e32 v116, 12, v50
	v_add_f32_e32 v117, 0xcb000008, v89
	v_add_f32_e32 v89, 0xcb000008, v90
	v_and_or_b32 v115, v115, 15, 0x4b000000
	v_lshrrev_b32_e32 v90, 8, v50
	v_and_or_b32 v116, v116, 15, 0x4b000000
	v_and_or_b32 v50, v50, 15, 0x4b000000
	v_lshrrev_b32_e32 v118, 16, v89
	v_add_f32_e32 v115, 0xcb000008, v115
	v_and_or_b32 v89, 0xffff0000, v119, v49
	v_lshrrev_b32_e32 v49, 4, v51
	v_lshrrev_b32_e32 v60, 16, v60
	v_add_f32_e32 v116, 0xcb000008, v116
	v_lshrrev_b32_e32 v120, 16, v115
	v_and_or_b32 v90, v90, 15, 0x4b000000
	v_and_or_b32 v49, v49, 15, 0x4b000000
	v_add_f32_e32 v50, 0xcb000008, v50
	v_lshrrev_b32_e32 v121, 16, v116
	v_and_or_b32 v115, 0xffff0000, v59, v60
	v_and_or_b32 v116, 0xffff0000, v117, v118
	v_lshrrev_b32_e32 v59, 12, v51
	v_and_or_b32 v60, v51, 15, 0x4b000000
	v_add_f32_e32 v49, 0xcb000008, v49
	v_and_or_b32 v117, 0xffff0000, v50, v120
	v_lshrrev_b32_e32 v50, 8, v51
	v_ashrrev_i32_e32 v51, 16, v51
	v_and_or_b32 v59, v59, 15, 0x4b000000
	v_add_f32_e32 v90, 0xcb000008, v90
	v_lshrrev_b32_e32 v49, 16, v49
	v_and_or_b32 v50, v50, 15, 0x4b000000
	v_lshrrev_b32_e32 v119, 12, v51
	v_add_f32_e32 v59, 0xcb000008, v59
	v_and_or_b32 v118, 0xffff0000, v90, v121
	v_lshrrev_b32_e32 v90, 4, v51
	v_lshrrev_b32_e32 v120, 8, v51
	v_and_or_b32 v119, v119, 15, 0x4b000000
	v_add_f32_e32 v60, 0xcb000008, v60
	v_and_or_b32 v51, v51, 15, 0x4b000000
	v_and_or_b32 v90, v90, 15, 0x4b000000
	s_delay_alu instid0(VALU_DEP_4) | instskip(SKIP_1) | instid1(VALU_DEP_4)
	v_dual_add_f32 v50, 0xcb000008, v50 :: v_dual_add_f32 v119, 0xcb000008, v119
	v_and_or_b32 v120, v120, 15, 0x4b000000
	v_add_f32_e32 v51, 0xcb000008, v51
	v_lshrrev_b32_e32 v59, 16, v59
	s_wait_dscnt 0x0
	v_and_or_b32 v124, v82, 15, 0x4b000000
	v_lshrrev_b32_e32 v123, 16, v119
	v_and_or_b32 v119, 0xffff0000, v60, v49
	v_lshrrev_b32_e32 v49, 4, v52
	s_delay_alu instid0(VALU_DEP_1) | instskip(NEXT) | instid1(VALU_DEP_1)
	v_and_or_b32 v49, v49, 15, 0x4b000000
	v_dual_add_f32 v90, 0xcb000008, v90 :: v_dual_add_f32 v49, 0xcb000008, v49
	s_delay_alu instid0(VALU_DEP_1) | instskip(NEXT) | instid1(VALU_DEP_2)
	v_lshrrev_b32_e32 v90, 16, v90
	v_lshrrev_b32_e32 v49, 16, v49
	s_delay_alu instid0(VALU_DEP_2) | instskip(SKIP_1) | instid1(VALU_DEP_1)
	v_and_or_b32 v121, 0xffff0000, v51, v90
	v_lshrrev_b32_e32 v51, 12, v52
	v_and_or_b32 v51, v51, 15, 0x4b000000
	v_add_f32_e32 v122, 0xcb000008, v120
	v_and_or_b32 v120, 0xffff0000, v50, v59
	v_ashrrev_i32_e32 v59, 16, v52
	v_lshrrev_b32_e32 v50, 8, v52
	v_and_or_b32 v52, v52, 15, 0x4b000000
	v_add_f32_e32 v51, 0xcb000008, v51
	v_and_or_b32 v122, 0xffff0000, v122, v123
	v_lshrrev_b32_e32 v90, 12, v59
	v_lshrrev_b32_e32 v123, 8, v59
	;; [unrolled: 1-line block ×3, first 2 shown]
	v_and_or_b32 v59, v59, 15, 0x4b000000
	v_add_f32_e32 v52, 0xcb000008, v52
	v_and_or_b32 v90, v90, 15, 0x4b000000
	v_and_or_b32 v123, v123, 15, 0x4b000000
	;; [unrolled: 1-line block ×3, first 2 shown]
	v_add_f32_e32 v59, 0xcb000008, v59
	v_and_or_b32 v49, 0xffff0000, v52, v49
	v_add_f32_e32 v52, 0xcb000008, v90
	v_add_f32_e32 v90, 0xcb000008, v123
	v_lshrrev_b32_e32 v123, 12, v82
	v_and_or_b32 v50, v50, 15, 0x4b000000
	v_lshrrev_b32_e32 v51, 16, v51
	s_delay_alu instid0(VALU_DEP_3) | instskip(SKIP_1) | instid1(VALU_DEP_2)
	v_and_or_b32 v123, v123, 15, 0x4b000000
	v_add_f32_e32 v60, 0xcb000008, v60
	v_dual_add_f32 v50, 0xcb000008, v50 :: v_dual_add_f32 v123, 0xcb000008, v123
	s_delay_alu instid0(VALU_DEP_2) | instskip(NEXT) | instid1(VALU_DEP_2)
	v_lshrrev_b32_e32 v60, 16, v60
	v_and_or_b32 v50, 0xffff0000, v50, v51
	s_delay_alu instid0(VALU_DEP_3) | instskip(NEXT) | instid1(VALU_DEP_3)
	v_lshrrev_b32_e32 v128, 16, v123
	v_and_or_b32 v51, 0xffff0000, v59, v60
	v_lshrrev_b32_e32 v59, 4, v82
	v_lshrrev_b32_e32 v60, 8, v82
	v_ashrrev_i32_e32 v82, 16, v82
	s_delay_alu instid0(VALU_DEP_3) | instskip(NEXT) | instid1(VALU_DEP_3)
	v_and_or_b32 v59, v59, 15, 0x4b000000
	v_and_or_b32 v60, v60, 15, 0x4b000000
	s_delay_alu instid0(VALU_DEP_3)
	v_lshrrev_b32_e32 v125, 4, v82
	v_lshrrev_b32_e32 v127, 8, v82
	;; [unrolled: 1-line block ×3, first 2 shown]
	v_add_f32_e32 v59, 0xcb000008, v59
	v_and_or_b32 v82, v82, 15, 0x4b000000
	v_and_or_b32 v125, v125, 15, 0x4b000000
	;; [unrolled: 1-line block ×3, first 2 shown]
	v_add_f32_e32 v124, 0xcb000008, v124
	v_lshrrev_b32_e32 v59, 16, v59
	v_and_or_b32 v126, v126, 15, 0x4b000000
	v_add_f32_e32 v125, 0xcb000008, v125
	v_add_f32_e32 v127, 0xcb000008, v127
	v_lshrrev_b32_e32 v52, 16, v52
	v_and_or_b32 v123, 0xffff0000, v124, v59
	v_lshrrev_b32_e32 v59, 4, v83
	v_add_f32_e32 v126, 0xcb000008, v126
	v_add_f32_e32 v82, 0xcb000008, v82
	v_lshrrev_b32_e32 v125, 16, v125
	v_and_or_b32 v52, 0xffff0000, v90, v52
	v_and_or_b32 v59, v59, 15, 0x4b000000
	v_add_f32_e32 v60, 0xcb000008, v60
	v_lshrrev_b32_e32 v126, 16, v126
	v_and_or_b32 v125, 0xffff0000, v82, v125
	v_lshrrev_b32_e32 v82, 12, v83
	v_and_or_b32 v90, v83, 15, 0x4b000000
	v_add_f32_e32 v59, 0xcb000008, v59
	v_and_or_b32 v124, 0xffff0000, v60, v128
	v_lshrrev_b32_e32 v60, 8, v83
	v_ashrrev_i32_e32 v83, 16, v83
	v_and_or_b32 v126, 0xffff0000, v127, v126
	v_and_or_b32 v82, v82, 15, 0x4b000000
	v_add_f32_e32 v90, 0xcb000008, v90
	v_and_or_b32 v60, v60, 15, 0x4b000000
	v_lshrrev_b32_e32 v127, 4, v83
	v_lshrrev_b32_e32 v128, 12, v83
	;; [unrolled: 1-line block ×3, first 2 shown]
	v_and_or_b32 v83, v83, 15, 0x4b000000
	v_add_f32_e32 v82, 0xcb000008, v82
	v_and_or_b32 v127, v127, 15, 0x4b000000
	v_and_or_b32 v128, v128, 15, 0x4b000000
	;; [unrolled: 1-line block ×3, first 2 shown]
	v_add_f32_e32 v83, 0xcb000008, v83
	v_lshrrev_b32_e32 v59, 16, v59
	s_delay_alu instid0(VALU_DEP_4) | instskip(NEXT) | instid1(VALU_DEP_4)
	v_dual_add_f32 v127, 0xcb000008, v127 :: v_dual_add_f32 v128, 0xcb000008, v128
	v_add_f32_e32 v131, 0xcb000008, v129
	v_lshrrev_b32_e32 v82, 16, v82
	s_delay_alu instid0(VALU_DEP_3) | instskip(NEXT) | instid1(VALU_DEP_4)
	v_lshrrev_b32_e32 v130, 16, v127
	v_lshrrev_b32_e32 v132, 16, v128
	v_and_or_b32 v127, 0xffff0000, v90, v59
	v_lshrrev_b32_e32 v59, 4, v84
	s_delay_alu instid0(VALU_DEP_4) | instskip(SKIP_2) | instid1(VALU_DEP_4)
	v_and_or_b32 v129, 0xffff0000, v83, v130
	v_ashrrev_i32_e32 v83, 16, v84
	v_and_or_b32 v130, 0xffff0000, v131, v132
	v_and_or_b32 v59, v59, 15, 0x4b000000
	s_delay_alu instid0(VALU_DEP_3) | instskip(SKIP_1) | instid1(VALU_DEP_3)
	v_lshrrev_b32_e32 v131, 12, v83
	v_lshrrev_b32_e32 v90, 4, v83
	v_add_f32_e32 v59, 0xcb000008, v59
	v_lshrrev_b32_e32 v132, 8, v83
	v_and_or_b32 v83, v83, 15, 0x4b000000
	v_and_or_b32 v131, v131, 15, 0x4b000000
	v_add_f32_e32 v60, 0xcb000008, v60
	v_and_or_b32 v90, v90, 15, 0x4b000000
	v_lshrrev_b32_e32 v59, 16, v59
	v_and_or_b32 v132, v132, 15, 0x4b000000
	v_add_f32_e32 v134, 0xcb000008, v83
	v_and_or_b32 v128, 0xffff0000, v60, v82
	v_lshrrev_b32_e32 v82, 12, v84
	v_lshrrev_b32_e32 v60, 8, v84
	v_and_or_b32 v84, v84, 15, 0x4b000000
	v_add_f32_e32 v90, 0xcb000008, v90
	s_delay_alu instid0(VALU_DEP_4) | instskip(NEXT) | instid1(VALU_DEP_4)
	v_and_or_b32 v82, v82, 15, 0x4b000000
	v_and_or_b32 v60, v60, 15, 0x4b000000
	s_delay_alu instid0(VALU_DEP_4) | instskip(NEXT) | instid1(VALU_DEP_4)
	v_add_f32_e32 v84, 0xcb000008, v84
	v_lshrrev_b32_e32 v90, 16, v90
	s_delay_alu instid0(VALU_DEP_4) | instskip(NEXT) | instid1(VALU_DEP_4)
	v_add_f32_e32 v82, 0xcb000008, v82
	v_add_f32_e32 v60, 0xcb000008, v60
	s_delay_alu instid0(VALU_DEP_2)
	v_lshrrev_b32_e32 v133, 16, v82
	v_and_or_b32 v82, 0xffff0000, v84, v59
	v_add_f32_e32 v59, 0xcb000008, v131
	v_and_or_b32 v84, 0xffff0000, v134, v90
	v_lshrrev_b32_e32 v90, 4, v85
	v_and_or_b32 v83, 0xffff0000, v60, v133
	v_add_f32_e32 v60, 0xcb000008, v132
	v_lshrrev_b32_e32 v131, 8, v85
	v_lshrrev_b32_e32 v132, 12, v85
	v_and_or_b32 v133, v85, 15, 0x4b000000
	v_ashrrev_i32_e32 v85, 16, v85
	v_and_or_b32 v90, v90, 15, 0x4b000000
	v_and_or_b32 v131, v131, 15, 0x4b000000
	;; [unrolled: 1-line block ×3, first 2 shown]
	v_lshrrev_b32_e32 v59, 16, v59
	v_lshrrev_b32_e32 v134, 4, v85
	;; [unrolled: 1-line block ×3, first 2 shown]
	s_delay_alu instid0(VALU_DEP_4) | instskip(SKIP_1) | instid1(VALU_DEP_4)
	v_dual_add_f32 v136, 0xcb000008, v131 :: v_dual_add_f32 v131, 0xcb000008, v132
	v_lshrrev_b32_e32 v132, 8, v85
	v_and_or_b32 v134, v134, 15, 0x4b000000
	s_delay_alu instid0(VALU_DEP_4) | instskip(SKIP_3) | instid1(VALU_DEP_4)
	v_and_or_b32 v135, v135, 15, 0x4b000000
	v_add_f32_e32 v90, 0xcb000008, v90
	v_and_or_b32 v85, v85, 15, 0x4b000000
	v_and_or_b32 v132, v132, 15, 0x4b000000
	v_dual_add_f32 v134, 0xcb000008, v134 :: v_dual_add_f32 v135, 0xcb000008, v135
	v_add_f32_e32 v133, 0xcb000008, v133
	v_lshrrev_b32_e32 v90, 16, v90
	v_lshrrev_b32_e32 v137, 16, v131
	v_dual_add_f32 v138, 0xcb000008, v85 :: v_dual_add_f32 v139, 0xcb000008, v132
	v_lshrrev_b32_e32 v134, 16, v134
	v_lshrrev_b32_e32 v135, 16, v135
	v_and_or_b32 v85, 0xffff0000, v60, v59
	v_and_or_b32 v131, 0xffff0000, v133, v90
	;; [unrolled: 1-line block ×5, first 2 shown]
	; sched_barrier mask(0x00000000)
	s_barrier_signal -1
	s_barrier_wait -1
	; sched_barrier mask(0x00000000)
	v_wmma_f32_16x16x16_bf16 v[1:8], v[86:89], v[53:56], v[1:8]
	s_delay_alu instid0(VALU_DEP_1) | instskip(NEXT) | instid1(VALU_DEP_1)
	v_wmma_f32_16x16x16_bf16 v[1:8], v[115:118], v[62:65], v[1:8]
	v_wmma_f32_16x16x16_bf16 v[1:8], v[119:122], v[66:69], v[1:8]
	s_delay_alu instid0(VALU_DEP_1)
	v_wmma_f32_16x16x16_bf16 v[1:8], v[49:52], v[70:73], v[1:8]
	; sched_barrier mask(0x00000000)
	s_setprio 1
	; sched_barrier mask(0x00000000)
	; sched_barrier mask(0x00000000)
	s_wait_dscnt 0x0
	s_barrier_signal -1
	s_barrier_wait -1
	; sched_barrier mask(0x00000000)
	v_wmma_f32_16x16x16_bf16 v[1:8], v[123:126], v[74:77], v[1:8]
	s_delay_alu instid0(VALU_DEP_1) | instskip(NEXT) | instid1(VALU_DEP_1)
	v_wmma_f32_16x16x16_bf16 v[1:8], v[127:130], v[78:81], v[1:8]
	v_wmma_f32_16x16x16_bf16 v[1:8], v[82:85], v[45:48], v[1:8]
	s_delay_alu instid0(VALU_DEP_1)
	v_wmma_f32_16x16x16_bf16 v[1:8], v[131:134], v[41:44], v[1:8]
	; sched_barrier mask(0x00000000)
	s_setprio 0
	; sched_barrier mask(0x00000000)
	v_lshlrev_b32_e32 v41, 1, v61
	v_add_nc_u32_e32 v118, v106, v114
	v_add_nc_u32_e32 v117, v106, v111
	v_add_nc_u32_e64 v122, 4, s7
	s_wait_loadcnt 0x7
	ds_store_b128 v41, v[21:24]
	v_ashrrev_i32_e32 v21, 31, v105
	buffer_load_b128 v[41:44], v117, s[0:3], null offen offset:768
	v_lshrrev_b32_e32 v21, 28, v21
	s_delay_alu instid0(VALU_DEP_1) | instskip(NEXT) | instid1(VALU_DEP_1)
	v_add_nc_u32_e32 v21, v105, v21
	v_and_b32_e32 v21, -16, v21
	s_delay_alu instid0(VALU_DEP_1) | instskip(NEXT) | instid1(VALU_DEP_1)
	v_sub_nc_u32_e32 v21, v105, v21
	v_xor_b32_e32 v121, v21, v103
	s_delay_alu instid0(VALU_DEP_1) | instskip(NEXT) | instid1(VALU_DEP_1)
	v_sub_nc_u32_e32 v21, v121, v108
	v_lshlrev_b32_e32 v21, 3, v21
	s_delay_alu instid0(VALU_DEP_1) | instskip(NEXT) | instid1(VALU_DEP_1)
	v_add3_u32 v21, v61, v109, v21
	v_lshlrev_b32_e32 v120, 1, v21
	s_wait_loadcnt 0x7
	ds_store_b128 v120, v[17:20]
	v_add_nc_u32_e32 v17, -1, v105
	s_delay_alu instid0(VALU_DEP_1) | instskip(NEXT) | instid1(VALU_DEP_1)
	v_ashrrev_i32_e32 v18, 31, v17
	v_lshrrev_b32_e32 v18, 28, v18
	s_delay_alu instid0(VALU_DEP_1) | instskip(NEXT) | instid1(VALU_DEP_1)
	v_add_nc_u32_e32 v18, v17, v18
	v_and_b32_e32 v18, -16, v18
	s_delay_alu instid0(VALU_DEP_1) | instskip(NEXT) | instid1(VALU_DEP_1)
	v_sub_nc_u32_e32 v17, v17, v18
	v_xor_b32_e32 v108, v17, v103
	s_delay_alu instid0(VALU_DEP_1) | instskip(NEXT) | instid1(VALU_DEP_1)
	v_sub_nc_u32_e32 v17, v108, v121
	v_lshl_add_u32 v115, v17, 3, 0xffffff80
	v_lshrrev_b32_e32 v17, 31, v107
	s_delay_alu instid0(VALU_DEP_2) | instskip(NEXT) | instid1(VALU_DEP_2)
	v_add_nc_u32_e32 v119, v115, v21
	v_add_nc_u32_e32 v17, v107, v17
	s_delay_alu instid0(VALU_DEP_1) | instskip(SKIP_3) | instid1(VALU_DEP_1)
	v_ashrrev_i32_e32 v17, 1, v17
	s_wait_loadcnt 0x6
	ds_store_b128 v17, v[13:16] offset:4096
	v_add_nc_u32_e32 v13, v107, v112
	v_lshrrev_b32_e32 v14, 31, v13
	v_add_nc_u32_e32 v107, v13, v113
	s_delay_alu instid0(VALU_DEP_2) | instskip(NEXT) | instid1(VALU_DEP_1)
	v_add_nc_u32_e32 v14, v13, v14
	v_ashrrev_i32_e32 v116, 1, v14
	s_wait_loadcnt 0x5
	ds_store_b128 v116, v[9:12] offset:4096
	v_add_nc_u32_e32 v9, 0xfffffe00, v118
	buffer_load_b128 v[45:48], v9, s[0:3], null offen
	v_lshrrev_b32_e32 v9, 31, v57
	s_delay_alu instid0(VALU_DEP_1) | instskip(NEXT) | instid1(VALU_DEP_1)
	v_add_nc_u32_e32 v9, v57, v9
	v_ashrrev_i32_e32 v9, 1, v9
	buffer_load_b128 v[49:52], v9, s[8:11], null offen
	v_add_nc_u32_e32 v9, 0x80, v57
	s_delay_alu instid0(VALU_DEP_1) | instskip(NEXT) | instid1(VALU_DEP_1)
	v_lshrrev_b32_e32 v10, 31, v9
	v_add_nc_u32_e32 v9, v9, v10
	s_delay_alu instid0(VALU_DEP_1)
	v_ashrrev_i32_e32 v9, 1, v9
	buffer_load_b128 v[53:56], v9, s[8:11], null offen
	v_sub_nc_u32_e32 v9, v122, v58
	s_wait_dscnt 0x0
	s_barrier_signal -1
	s_barrier_wait -1
	s_delay_alu instid0(VALU_DEP_1)
	v_mad_co_u64_u32 v[89:90], null, v9, s12, v[57:58]
	ds_load_b128 v[69:72], v94
	ds_load_b128 v[65:68], v95
	;; [unrolled: 1-line block ×8, first 2 shown]
	ds_load_b128 v[84:87], v102 offset:4096
	s_wait_dscnt 0x0
	v_lshrrev_b32_e32 v74, 4, v84
	v_lshrrev_b32_e32 v76, 12, v84
	v_and_or_b32 v73, v84, 15, 0x4b000000
	v_lshrrev_b32_e32 v75, 8, v84
	v_lshrrev_b32_e32 v80, 12, v85
	v_and_or_b32 v74, v74, 15, 0x4b000000
	v_and_or_b32 v76, v76, 15, 0x4b000000
	v_add_f32_e32 v73, 0xcb000008, v73
	v_and_or_b32 v75, v75, 15, 0x4b000000
	v_and_or_b32 v80, v80, 15, 0x4b000000
	v_add_f32_e32 v74, 0xcb000008, v74
	v_add_f32_e32 v76, 0xcb000008, v76
	v_lshrrev_b32_e32 v90, 12, v87
	s_delay_alu instid0(VALU_DEP_4) | instskip(NEXT) | instid1(VALU_DEP_4)
	v_dual_add_f32 v75, 0xcb000008, v75 :: v_dual_add_f32 v80, 0xcb000008, v80
	v_lshrrev_b32_e32 v74, 16, v74
	s_delay_alu instid0(VALU_DEP_3) | instskip(NEXT) | instid1(VALU_DEP_2)
	v_and_or_b32 v90, v90, 15, 0x4b000000
	v_and_or_b32 v73, 0xffff0000, v73, v74
	v_lshrrev_b32_e32 v74, 16, v76
	s_delay_alu instid0(VALU_DEP_3) | instskip(NEXT) | instid1(VALU_DEP_2)
	v_add_f32_e32 v90, 0xcb000008, v90
	v_and_or_b32 v74, 0xffff0000, v75, v74
	v_ashrrev_i32_e32 v75, 16, v84
	v_lshrrev_b32_e32 v84, 12, v86
	s_delay_alu instid0(VALU_DEP_2)
	v_lshrrev_b32_e32 v77, 4, v75
	v_and_or_b32 v76, v75, 15, 0x4b000000
	v_lshrrev_b32_e32 v78, 8, v75
	v_lshrrev_b32_e32 v75, 12, v75
	v_and_or_b32 v84, v84, 15, 0x4b000000
	v_and_or_b32 v77, v77, 15, 0x4b000000
	v_add_f32_e32 v76, 0xcb000008, v76
	v_and_or_b32 v78, v78, 15, 0x4b000000
	v_and_or_b32 v75, v75, 15, 0x4b000000
	s_delay_alu instid0(VALU_DEP_4) | instskip(NEXT) | instid1(VALU_DEP_2)
	v_dual_add_f32 v84, 0xcb000008, v84 :: v_dual_add_f32 v77, 0xcb000008, v77
	v_dual_add_f32 v78, 0xcb000008, v78 :: v_dual_add_f32 v79, 0xcb000008, v75
	s_delay_alu instid0(VALU_DEP_2) | instskip(SKIP_1) | instid1(VALU_DEP_2)
	v_lshrrev_b32_e32 v75, 16, v77
	v_and_or_b32 v77, v85, 15, 0x4b000000
	v_and_or_b32 v75, 0xffff0000, v76, v75
	s_delay_alu instid0(VALU_DEP_4) | instskip(SKIP_1) | instid1(VALU_DEP_4)
	v_lshrrev_b32_e32 v76, 16, v79
	v_lshrrev_b32_e32 v79, 8, v85
	v_add_f32_e32 v77, 0xcb000008, v77
	s_delay_alu instid0(VALU_DEP_3) | instskip(SKIP_1) | instid1(VALU_DEP_4)
	v_and_or_b32 v76, 0xffff0000, v78, v76
	v_lshrrev_b32_e32 v78, 4, v85
	v_and_or_b32 v79, v79, 15, 0x4b000000
	s_delay_alu instid0(VALU_DEP_2) | instskip(NEXT) | instid1(VALU_DEP_1)
	v_and_or_b32 v78, v78, 15, 0x4b000000
	v_dual_add_f32 v79, 0xcb000008, v79 :: v_dual_add_f32 v78, 0xcb000008, v78
	s_delay_alu instid0(VALU_DEP_1) | instskip(NEXT) | instid1(VALU_DEP_1)
	v_lshrrev_b32_e32 v78, 16, v78
	v_and_or_b32 v77, 0xffff0000, v77, v78
	v_lshrrev_b32_e32 v78, 16, v80
	s_delay_alu instid0(VALU_DEP_1) | instskip(SKIP_1) | instid1(VALU_DEP_1)
	v_and_or_b32 v78, 0xffff0000, v79, v78
	v_ashrrev_i32_e32 v79, 16, v85
	v_lshrrev_b32_e32 v81, 4, v79
	v_and_or_b32 v80, v79, 15, 0x4b000000
	v_lshrrev_b32_e32 v82, 8, v79
	v_lshrrev_b32_e32 v79, 12, v79
	s_delay_alu instid0(VALU_DEP_4) | instskip(NEXT) | instid1(VALU_DEP_4)
	v_and_or_b32 v81, v81, 15, 0x4b000000
	v_add_f32_e32 v80, 0xcb000008, v80
	s_delay_alu instid0(VALU_DEP_4) | instskip(NEXT) | instid1(VALU_DEP_4)
	v_and_or_b32 v82, v82, 15, 0x4b000000
	v_and_or_b32 v79, v79, 15, 0x4b000000
	s_delay_alu instid0(VALU_DEP_2) | instskip(NEXT) | instid1(VALU_DEP_2)
	v_dual_add_f32 v81, 0xcb000008, v81 :: v_dual_add_f32 v82, 0xcb000008, v82
	v_add_f32_e32 v83, 0xcb000008, v79
	s_delay_alu instid0(VALU_DEP_2) | instskip(SKIP_1) | instid1(VALU_DEP_2)
	v_lshrrev_b32_e32 v79, 16, v81
	v_and_or_b32 v81, v86, 15, 0x4b000000
	v_and_or_b32 v79, 0xffff0000, v80, v79
	s_delay_alu instid0(VALU_DEP_4) | instskip(SKIP_1) | instid1(VALU_DEP_4)
	v_lshrrev_b32_e32 v80, 16, v83
	v_lshrrev_b32_e32 v83, 8, v86
	v_add_f32_e32 v81, 0xcb000008, v81
	s_delay_alu instid0(VALU_DEP_3) | instskip(SKIP_1) | instid1(VALU_DEP_4)
	v_and_or_b32 v80, 0xffff0000, v82, v80
	v_lshrrev_b32_e32 v82, 4, v86
	v_and_or_b32 v83, v83, 15, 0x4b000000
	s_delay_alu instid0(VALU_DEP_2) | instskip(NEXT) | instid1(VALU_DEP_1)
	v_and_or_b32 v82, v82, 15, 0x4b000000
	v_dual_add_f32 v83, 0xcb000008, v83 :: v_dual_add_f32 v82, 0xcb000008, v82
	s_delay_alu instid0(VALU_DEP_1) | instskip(NEXT) | instid1(VALU_DEP_1)
	v_lshrrev_b32_e32 v82, 16, v82
	v_and_or_b32 v81, 0xffff0000, v81, v82
	v_lshrrev_b32_e32 v82, 16, v84
	s_delay_alu instid0(VALU_DEP_1) | instskip(SKIP_1) | instid1(VALU_DEP_1)
	v_and_or_b32 v82, 0xffff0000, v83, v82
	v_ashrrev_i32_e32 v83, 16, v86
	v_lshrrev_b32_e32 v85, 4, v83
	v_and_or_b32 v84, v83, 15, 0x4b000000
	v_lshrrev_b32_e32 v86, 8, v83
	v_lshrrev_b32_e32 v83, 12, v83
	s_delay_alu instid0(VALU_DEP_4) | instskip(NEXT) | instid1(VALU_DEP_4)
	v_and_or_b32 v85, v85, 15, 0x4b000000
	v_add_f32_e32 v84, 0xcb000008, v84
	s_delay_alu instid0(VALU_DEP_4) | instskip(NEXT) | instid1(VALU_DEP_4)
	v_and_or_b32 v86, v86, 15, 0x4b000000
	v_and_or_b32 v83, v83, 15, 0x4b000000
	s_delay_alu instid0(VALU_DEP_2) | instskip(NEXT) | instid1(VALU_DEP_2)
	v_dual_add_f32 v85, 0xcb000008, v85 :: v_dual_add_f32 v86, 0xcb000008, v86
	v_add_f32_e32 v88, 0xcb000008, v83
	s_delay_alu instid0(VALU_DEP_2) | instskip(SKIP_1) | instid1(VALU_DEP_2)
	v_lshrrev_b32_e32 v83, 16, v85
	v_and_or_b32 v85, v87, 15, 0x4b000000
	v_and_or_b32 v83, 0xffff0000, v84, v83
	s_delay_alu instid0(VALU_DEP_4) | instskip(SKIP_1) | instid1(VALU_DEP_4)
	v_lshrrev_b32_e32 v84, 16, v88
	v_lshrrev_b32_e32 v88, 8, v87
	v_add_f32_e32 v85, 0xcb000008, v85
	s_delay_alu instid0(VALU_DEP_3) | instskip(SKIP_1) | instid1(VALU_DEP_4)
	v_and_or_b32 v84, 0xffff0000, v86, v84
	v_lshrrev_b32_e32 v86, 4, v87
	v_and_or_b32 v88, v88, 15, 0x4b000000
	v_ashrrev_i32_e32 v87, 16, v87
	s_delay_alu instid0(VALU_DEP_3) | instskip(NEXT) | instid1(VALU_DEP_3)
	v_and_or_b32 v86, v86, 15, 0x4b000000
	v_add_f32_e32 v88, 0xcb000008, v88
	s_delay_alu instid0(VALU_DEP_3) | instskip(NEXT) | instid1(VALU_DEP_3)
	v_lshrrev_b32_e32 v123, 8, v87
	v_add_f32_e32 v86, 0xcb000008, v86
	s_delay_alu instid0(VALU_DEP_2) | instskip(NEXT) | instid1(VALU_DEP_2)
	v_and_or_b32 v123, v123, 15, 0x4b000000
	v_lshrrev_b32_e32 v86, 16, v86
	s_delay_alu instid0(VALU_DEP_2) | instskip(NEXT) | instid1(VALU_DEP_2)
	v_add_f32_e32 v123, 0xcb000008, v123
	v_and_or_b32 v85, 0xffff0000, v85, v86
	v_lshrrev_b32_e32 v86, 16, v90
	v_lshrrev_b32_e32 v90, 4, v87
	s_delay_alu instid0(VALU_DEP_2) | instskip(SKIP_1) | instid1(VALU_DEP_3)
	v_and_or_b32 v86, 0xffff0000, v88, v86
	v_and_or_b32 v88, v87, 15, 0x4b000000
	;; [unrolled: 1-line block ×3, first 2 shown]
	v_lshrrev_b32_e32 v87, 12, v87
	s_delay_alu instid0(VALU_DEP_3) | instskip(NEXT) | instid1(VALU_DEP_3)
	v_add_f32_e32 v88, 0xcb000008, v88
	v_add_f32_e32 v90, 0xcb000008, v90
	s_delay_alu instid0(VALU_DEP_3) | instskip(NEXT) | instid1(VALU_DEP_1)
	v_and_or_b32 v87, v87, 15, 0x4b000000
	v_add_f32_e32 v124, 0xcb000008, v87
	s_delay_alu instid0(VALU_DEP_3) | instskip(NEXT) | instid1(VALU_DEP_1)
	v_lshrrev_b32_e32 v87, 16, v90
	v_and_or_b32 v87, 0xffff0000, v88, v87
	s_delay_alu instid0(VALU_DEP_3) | instskip(NEXT) | instid1(VALU_DEP_1)
	v_lshrrev_b32_e32 v88, 16, v124
	v_and_or_b32 v88, 0xffff0000, v123, v88
	ds_load_b128 v[123:126], v93 offset:4096
	s_wait_dscnt 0x0
	v_lshrrev_b32_e32 v127, 4, v123
	v_lshrrev_b32_e32 v128, 8, v123
	;; [unrolled: 1-line block ×3, first 2 shown]
	v_and_or_b32 v90, v123, 15, 0x4b000000
	v_lshrrev_b32_e32 v132, 12, v124
	v_and_or_b32 v127, v127, 15, 0x4b000000
	v_and_or_b32 v128, v128, 15, 0x4b000000
	;; [unrolled: 1-line block ×3, first 2 shown]
	v_add_f32_e32 v90, 0xcb000008, v90
	v_lshrrev_b32_e32 v131, 8, v124
	s_delay_alu instid0(VALU_DEP_4) | instskip(NEXT) | instid1(VALU_DEP_4)
	v_dual_add_f32 v127, 0xcb000008, v127 :: v_dual_add_f32 v128, 0xcb000008, v128
	v_add_f32_e32 v129, 0xcb000008, v129
	v_and_or_b32 v132, v132, 15, 0x4b000000
	s_delay_alu instid0(VALU_DEP_4) | instskip(NEXT) | instid1(VALU_DEP_4)
	v_and_or_b32 v131, v131, 15, 0x4b000000
	v_lshrrev_b32_e32 v127, 16, v127
	v_lshrrev_b32_e32 v135, 12, v125
	s_delay_alu instid0(VALU_DEP_3) | instskip(NEXT) | instid1(VALU_DEP_3)
	v_dual_add_f32 v132, 0xcb000008, v132 :: v_dual_add_f32 v133, 0xcb000008, v131
	v_and_or_b32 v127, 0xffff0000, v90, v127
	v_lshrrev_b32_e32 v90, 16, v129
	s_delay_alu instid0(VALU_DEP_4) | instskip(NEXT) | instid1(VALU_DEP_2)
	v_and_or_b32 v135, v135, 15, 0x4b000000
	v_and_or_b32 v128, 0xffff0000, v128, v90
	v_ashrrev_i32_e32 v90, 16, v123
	s_delay_alu instid0(VALU_DEP_3) | instskip(NEXT) | instid1(VALU_DEP_2)
	v_add_f32_e32 v136, 0xcb000008, v135
	v_and_or_b32 v123, v90, 15, 0x4b000000
	v_lshrrev_b32_e32 v129, 4, v90
	v_lshrrev_b32_e32 v130, 8, v90
	;; [unrolled: 1-line block ×3, first 2 shown]
	s_delay_alu instid0(VALU_DEP_3) | instskip(NEXT) | instid1(VALU_DEP_3)
	v_and_or_b32 v129, v129, 15, 0x4b000000
	v_and_or_b32 v130, v130, 15, 0x4b000000
	s_delay_alu instid0(VALU_DEP_3) | instskip(NEXT) | instid1(VALU_DEP_2)
	v_and_or_b32 v90, v90, 15, 0x4b000000
	v_dual_add_f32 v123, 0xcb000008, v123 :: v_dual_add_f32 v130, 0xcb000008, v130
	s_delay_alu instid0(VALU_DEP_2) | instskip(NEXT) | instid1(VALU_DEP_1)
	v_add_f32_e32 v90, 0xcb000008, v90
	v_lshrrev_b32_e32 v90, 16, v90
	s_delay_alu instid0(VALU_DEP_1) | instskip(SKIP_1) | instid1(VALU_DEP_1)
	v_and_or_b32 v130, 0xffff0000, v130, v90
	v_and_or_b32 v90, v124, 15, 0x4b000000
	v_dual_add_f32 v129, 0xcb000008, v129 :: v_dual_add_f32 v90, 0xcb000008, v90
	s_delay_alu instid0(VALU_DEP_1) | instskip(NEXT) | instid1(VALU_DEP_1)
	v_lshrrev_b32_e32 v129, 16, v129
	v_and_or_b32 v129, 0xffff0000, v123, v129
	v_lshrrev_b32_e32 v123, 4, v124
	s_delay_alu instid0(VALU_DEP_1) | instskip(NEXT) | instid1(VALU_DEP_1)
	v_and_or_b32 v123, v123, 15, 0x4b000000
	v_add_f32_e32 v123, 0xcb000008, v123
	s_delay_alu instid0(VALU_DEP_1) | instskip(NEXT) | instid1(VALU_DEP_1)
	v_lshrrev_b32_e32 v123, 16, v123
	v_and_or_b32 v131, 0xffff0000, v90, v123
	v_lshrrev_b32_e32 v90, 16, v132
	s_delay_alu instid0(VALU_DEP_1) | instskip(SKIP_1) | instid1(VALU_DEP_1)
	v_and_or_b32 v132, 0xffff0000, v133, v90
	v_ashrrev_i32_e32 v90, 16, v124
	v_lshrrev_b32_e32 v124, 4, v90
	v_and_or_b32 v123, v90, 15, 0x4b000000
	v_lshrrev_b32_e32 v133, 8, v90
	v_lshrrev_b32_e32 v90, 12, v90
	s_delay_alu instid0(VALU_DEP_4) | instskip(NEXT) | instid1(VALU_DEP_3)
	v_and_or_b32 v124, v124, 15, 0x4b000000
	v_and_or_b32 v133, v133, 15, 0x4b000000
	v_add_f32_e32 v123, 0xcb000008, v123
	s_delay_alu instid0(VALU_DEP_4) | instskip(NEXT) | instid1(VALU_DEP_4)
	v_and_or_b32 v90, v90, 15, 0x4b000000
	v_add_f32_e32 v124, 0xcb000008, v124
	s_delay_alu instid0(VALU_DEP_4) | instskip(NEXT) | instid1(VALU_DEP_2)
	v_add_f32_e32 v134, 0xcb000008, v133
	v_lshrrev_b32_e32 v124, 16, v124
	s_delay_alu instid0(VALU_DEP_1) | instskip(SKIP_2) | instid1(VALU_DEP_2)
	v_and_or_b32 v133, 0xffff0000, v123, v124
	v_lshrrev_b32_e32 v123, 4, v125
	v_lshrrev_b32_e32 v124, 8, v125
	v_and_or_b32 v123, v123, 15, 0x4b000000
	v_add_f32_e32 v90, 0xcb000008, v90
	s_delay_alu instid0(VALU_DEP_3) | instskip(NEXT) | instid1(VALU_DEP_3)
	v_and_or_b32 v124, v124, 15, 0x4b000000
	v_add_f32_e32 v123, 0xcb000008, v123
	s_delay_alu instid0(VALU_DEP_3) | instskip(NEXT) | instid1(VALU_DEP_3)
	v_lshrrev_b32_e32 v90, 16, v90
	v_add_f32_e32 v124, 0xcb000008, v124
	s_delay_alu instid0(VALU_DEP_3) | instskip(NEXT) | instid1(VALU_DEP_3)
	v_lshrrev_b32_e32 v123, 16, v123
	v_and_or_b32 v134, 0xffff0000, v134, v90
	v_and_or_b32 v90, v125, 15, 0x4b000000
	s_delay_alu instid0(VALU_DEP_1) | instskip(NEXT) | instid1(VALU_DEP_1)
	v_add_f32_e32 v90, 0xcb000008, v90
	v_and_or_b32 v135, 0xffff0000, v90, v123
	v_lshrrev_b32_e32 v90, 16, v136
	s_delay_alu instid0(VALU_DEP_1) | instskip(SKIP_1) | instid1(VALU_DEP_1)
	v_and_or_b32 v136, 0xffff0000, v124, v90
	v_ashrrev_i32_e32 v90, 16, v125
	v_lshrrev_b32_e32 v124, 4, v90
	v_and_or_b32 v123, v90, 15, 0x4b000000
	v_lshrrev_b32_e32 v125, 8, v90
	v_lshrrev_b32_e32 v90, 12, v90
	s_delay_alu instid0(VALU_DEP_4) | instskip(NEXT) | instid1(VALU_DEP_4)
	v_and_or_b32 v124, v124, 15, 0x4b000000
	v_add_f32_e32 v123, 0xcb000008, v123
	s_delay_alu instid0(VALU_DEP_4) | instskip(NEXT) | instid1(VALU_DEP_4)
	v_and_or_b32 v125, v125, 15, 0x4b000000
	v_and_or_b32 v90, v90, 15, 0x4b000000
	s_delay_alu instid0(VALU_DEP_2) | instskip(NEXT) | instid1(VALU_DEP_2)
	v_dual_add_f32 v124, 0xcb000008, v124 :: v_dual_add_f32 v125, 0xcb000008, v125
	v_add_f32_e32 v90, 0xcb000008, v90
	s_delay_alu instid0(VALU_DEP_2) | instskip(NEXT) | instid1(VALU_DEP_2)
	v_lshrrev_b32_e32 v124, 16, v124
	v_lshrrev_b32_e32 v90, 16, v90
	s_delay_alu instid0(VALU_DEP_2) | instskip(SKIP_2) | instid1(VALU_DEP_4)
	v_and_or_b32 v137, 0xffff0000, v123, v124
	v_lshrrev_b32_e32 v123, 4, v126
	v_lshrrev_b32_e32 v124, 8, v126
	v_and_or_b32 v138, 0xffff0000, v125, v90
	v_lshrrev_b32_e32 v125, 12, v126
	v_and_or_b32 v90, v126, 15, 0x4b000000
	v_and_or_b32 v123, v123, 15, 0x4b000000
	;; [unrolled: 1-line block ×3, first 2 shown]
	s_delay_alu instid0(VALU_DEP_4) | instskip(NEXT) | instid1(VALU_DEP_3)
	v_and_or_b32 v125, v125, 15, 0x4b000000
	v_dual_add_f32 v90, 0xcb000008, v90 :: v_dual_add_f32 v123, 0xcb000008, v123
	s_delay_alu instid0(VALU_DEP_2) | instskip(NEXT) | instid1(VALU_DEP_2)
	v_dual_add_f32 v124, 0xcb000008, v124 :: v_dual_add_f32 v125, 0xcb000008, v125
	v_lshrrev_b32_e32 v123, 16, v123
	s_delay_alu instid0(VALU_DEP_1) | instskip(NEXT) | instid1(VALU_DEP_3)
	v_and_or_b32 v123, 0xffff0000, v90, v123
	v_lshrrev_b32_e32 v90, 16, v125
	s_delay_alu instid0(VALU_DEP_1) | instskip(SKIP_1) | instid1(VALU_DEP_1)
	v_and_or_b32 v124, 0xffff0000, v124, v90
	v_ashrrev_i32_e32 v90, 16, v126
	v_and_or_b32 v125, v90, 15, 0x4b000000
	v_lshrrev_b32_e32 v126, 4, v90
	v_lshrrev_b32_e32 v139, 8, v90
	;; [unrolled: 1-line block ×3, first 2 shown]
	s_delay_alu instid0(VALU_DEP_4) | instskip(NEXT) | instid1(VALU_DEP_4)
	v_add_f32_e32 v125, 0xcb000008, v125
	v_and_or_b32 v126, v126, 15, 0x4b000000
	s_delay_alu instid0(VALU_DEP_4) | instskip(NEXT) | instid1(VALU_DEP_4)
	v_and_or_b32 v139, v139, 15, 0x4b000000
	v_and_or_b32 v90, v90, 15, 0x4b000000
	s_delay_alu instid0(VALU_DEP_2) | instskip(NEXT) | instid1(VALU_DEP_2)
	v_dual_add_f32 v126, 0xcb000008, v126 :: v_dual_add_f32 v139, 0xcb000008, v139
	v_add_f32_e32 v90, 0xcb000008, v90
	s_delay_alu instid0(VALU_DEP_2) | instskip(NEXT) | instid1(VALU_DEP_2)
	v_lshrrev_b32_e32 v126, 16, v126
	v_lshrrev_b32_e32 v90, 16, v90
	s_delay_alu instid0(VALU_DEP_2) | instskip(NEXT) | instid1(VALU_DEP_2)
	v_and_or_b32 v125, 0xffff0000, v125, v126
	v_and_or_b32 v126, 0xffff0000, v139, v90
	; sched_barrier mask(0x00000000)
	s_barrier_signal -1
	s_barrier_wait -1
	; sched_barrier mask(0x00000000)
	v_wmma_f32_16x16x16_bf16 v[1:8], v[73:76], v[69:72], v[1:8]
	s_delay_alu instid0(VALU_DEP_1) | instskip(NEXT) | instid1(VALU_DEP_1)
	v_wmma_f32_16x16x16_bf16 v[1:8], v[77:80], v[65:68], v[1:8]
	v_wmma_f32_16x16x16_bf16 v[1:8], v[81:84], v[61:64], v[1:8]
	s_delay_alu instid0(VALU_DEP_1)
	v_wmma_f32_16x16x16_bf16 v[1:8], v[85:88], v[57:60], v[1:8]
	; sched_barrier mask(0x00000000)
	s_setprio 1
	; sched_barrier mask(0x00000000)
	; sched_barrier mask(0x00000000)
	s_wait_dscnt 0x0
	s_barrier_signal -1
	s_barrier_wait -1
	; sched_barrier mask(0x00000000)
	v_wmma_f32_16x16x16_bf16 v[1:8], v[127:130], v[21:24], v[1:8]
	s_delay_alu instid0(VALU_DEP_1) | instskip(NEXT) | instid1(VALU_DEP_1)
	v_wmma_f32_16x16x16_bf16 v[1:8], v[131:134], v[17:20], v[1:8]
	v_wmma_f32_16x16x16_bf16 v[1:8], v[135:138], v[13:16], v[1:8]
	s_delay_alu instid0(VALU_DEP_1)
	v_wmma_f32_16x16x16_bf16 v[1:8], v[123:126], v[9:12], v[1:8]
	; sched_barrier mask(0x00000000)
	s_setprio 0
	; sched_barrier mask(0x00000000)
	v_add_nc_u32_e32 v9, 0x80, v89
	v_lshrrev_b32_e32 v10, 31, v89
	v_sub_nc_u32_e32 v57, v121, v108
	v_lshlrev_b32_e32 v61, 1, v115
	v_add_nc_u32_e64 v65, 5, s7
	v_lshrrev_b32_e32 v11, 31, v9
	v_add_nc_u32_e32 v10, v89, v10
	v_lshlrev_b32_e32 v59, 3, v57
	v_lshrrev_b32_e32 v57, 31, v107
	v_add_nc_u32_e32 v58, v120, v61
	v_add_nc_u32_e32 v9, v9, v11
	;; [unrolled: 1-line block ×3, first 2 shown]
	v_ashrrev_i32_e32 v10, 1, v10
	v_add_nc_u32_e32 v63, 0x80, v59
	v_add_nc_u32_e32 v57, v107, v57
	v_ashrrev_i32_e32 v9, 1, v9
	s_clause 0x1
	buffer_load_b128 v[21:24], v117, s[0:3], null offen offset:1024
	buffer_load_b128 v[17:20], v11, s[0:3], null offen
	s_clause 0x1
	buffer_load_b128 v[13:16], v10, s[8:11], null offen
	buffer_load_b128 v[9:12], v9, s[8:11], null offen
	v_lshlrev_b32_e32 v62, 1, v63
	v_ashrrev_i32_e32 v60, 1, v57
	v_add3_u32 v66, v119, v63, v115
	s_delay_alu instid0(VALU_DEP_3)
	v_add_nc_u32_e32 v64, v58, v62
	s_wait_loadcnt 0xb
	ds_store_b128 v58, v[25:28]
	s_wait_loadcnt 0xa
	ds_store_b128 v64, v[29:32]
	s_wait_loadcnt 0x9
	ds_store_b128 v60, v[33:36] offset:4096
	s_wait_loadcnt 0x8
	ds_store_b128 v116, v[37:40] offset:4096
	s_wait_dscnt 0x0
	s_barrier_signal -1
	s_barrier_wait -1
	ds_load_b128 v[25:28], v102 offset:4096
	v_sub_nc_u32_e32 v29, v65, v122
	s_delay_alu instid0(VALU_DEP_1)
	v_mad_co_u64_u32 v[57:58], null, v29, s12, v[89:90]
	ds_load_b128 v[29:32], v94
	ds_load_b128 v[33:36], v95
	;; [unrolled: 1-line block ×6, first 2 shown]
	ds_load_b128 v[79:82], v93 offset:4096
	ds_load_b128 v[83:86], v100
	ds_load_b128 v[87:90], v101
	s_wait_dscnt 0x9
	v_lshrrev_b32_e32 v119, 8, v25
	v_lshrrev_b32_e32 v120, 12, v25
	v_ashrrev_i32_e32 v121, 16, v25
	v_lshrrev_b32_e32 v58, 4, v25
	v_and_or_b32 v25, v25, 15, 0x4b000000
	v_and_or_b32 v119, v119, 15, 0x4b000000
	;; [unrolled: 1-line block ×3, first 2 shown]
	v_lshrrev_b32_e32 v122, 4, v121
	v_and_or_b32 v58, v58, 15, 0x4b000000
	v_lshrrev_b32_e32 v124, 8, v121
	v_add_f32_e32 v123, 0xcb000008, v119
	v_add_f32_e32 v119, 0xcb000008, v120
	v_and_or_b32 v120, v122, 15, 0x4b000000
	v_add_f32_e32 v58, 0xcb000008, v58
	v_lshrrev_b32_e32 v122, 12, v121
	v_add_f32_e32 v25, 0xcb000008, v25
	v_lshrrev_b32_e32 v125, 16, v119
	;; [unrolled: 2-line block ×3, first 2 shown]
	v_and_or_b32 v122, v122, 15, 0x4b000000
	v_and_or_b32 v124, v124, 15, 0x4b000000
	;; [unrolled: 1-line block ×3, first 2 shown]
	v_lshrrev_b32_e32 v126, 16, v120
	v_and_or_b32 v120, 0xffff0000, v123, v125
	v_lshrrev_b32_e32 v123, 8, v26
	v_and_or_b32 v119, 0xffff0000, v25, v58
	v_add_f32_e32 v58, 0xcb000008, v124
	v_lshrrev_b32_e32 v124, 12, v26
	v_and_or_b32 v125, v26, 15, 0x4b000000
	v_and_or_b32 v123, v123, 15, 0x4b000000
	v_add_f32_e32 v25, 0xcb000008, v122
	v_lshrrev_b32_e32 v122, 4, v26
	v_ashrrev_i32_e32 v26, 16, v26
	v_add_f32_e32 v121, 0xcb000008, v121
	v_and_or_b32 v124, v124, 15, 0x4b000000
	v_add_f32_e32 v128, 0xcb000008, v123
	v_and_or_b32 v122, v122, 15, 0x4b000000
	v_lshrrev_b32_e32 v127, 12, v26
	v_and_or_b32 v121, 0xffff0000, v121, v126
	v_lshrrev_b32_e32 v126, 4, v26
	v_lshrrev_b32_e32 v25, 16, v25
	v_add_f32_e32 v122, 0xcb000008, v122
	v_and_or_b32 v127, v127, 15, 0x4b000000
	v_add_f32_e32 v123, 0xcb000008, v124
	v_lshrrev_b32_e32 v124, 8, v26
	v_and_or_b32 v126, v126, 15, 0x4b000000
	v_lshrrev_b32_e32 v129, 16, v122
	v_add_f32_e32 v125, 0xcb000008, v125
	v_and_or_b32 v26, v26, 15, 0x4b000000
	v_and_or_b32 v122, v124, 15, 0x4b000000
	v_add_f32_e32 v124, 0xcb000008, v126
	v_add_f32_e32 v126, 0xcb000008, v127
	v_lshrrev_b32_e32 v127, 16, v123
	v_and_or_b32 v123, 0xffff0000, v125, v129
	v_add_f32_e32 v130, 0xcb000008, v122
	v_and_or_b32 v122, 0xffff0000, v58, v25
	v_lshrrev_b32_e32 v25, 4, v27
	v_lshrrev_b32_e32 v131, 16, v124
	v_and_or_b32 v124, 0xffff0000, v128, v127
	v_and_or_b32 v127, v27, 15, 0x4b000000
	v_add_f32_e32 v26, 0xcb000008, v26
	v_and_or_b32 v25, v25, 15, 0x4b000000
	v_lshrrev_b32_e32 v58, 12, v27
	v_lshrrev_b32_e32 v126, 16, v126
	v_add_f32_e32 v127, 0xcb000008, v127
	v_and_or_b32 v125, 0xffff0000, v26, v131
	v_lshrrev_b32_e32 v26, 8, v27
	v_ashrrev_i32_e32 v27, 16, v27
	v_add_f32_e32 v25, 0xcb000008, v25
	v_and_or_b32 v126, 0xffff0000, v130, v126
	v_and_or_b32 v58, v58, 15, 0x4b000000
	;; [unrolled: 1-line block ×3, first 2 shown]
	v_lshrrev_b32_e32 v128, 4, v27
	v_lshrrev_b32_e32 v25, 16, v25
	;; [unrolled: 1-line block ×4, first 2 shown]
	v_and_or_b32 v27, v27, 15, 0x4b000000
	v_and_or_b32 v128, v128, 15, 0x4b000000
	;; [unrolled: 1-line block ×3, first 2 shown]
	v_lshrrev_b32_e32 v25, 4, v28
	v_and_or_b32 v129, v129, 15, 0x4b000000
	v_add_f32_e32 v26, 0xcb000008, v26
	v_dual_add_f32 v58, 0xcb000008, v58 :: v_dual_add_f32 v27, 0xcb000008, v27
	s_delay_alu instid0(VALU_DEP_4) | instskip(NEXT) | instid1(VALU_DEP_4)
	v_and_or_b32 v25, v25, 15, 0x4b000000
	v_dual_add_f32 v128, 0xcb000008, v128 :: v_dual_add_f32 v129, 0xcb000008, v129
	v_and_or_b32 v130, v130, 15, 0x4b000000
	s_delay_alu instid0(VALU_DEP_4) | instskip(NEXT) | instid1(VALU_DEP_4)
	v_lshrrev_b32_e32 v58, 16, v58
	v_add_f32_e32 v25, 0xcb000008, v25
	s_delay_alu instid0(VALU_DEP_4)
	v_lshrrev_b32_e32 v131, 16, v128
	v_lshrrev_b32_e32 v132, 16, v129
	s_wait_dscnt 0x2
	v_and_or_b32 v134, v79, 15, 0x4b000000
	v_and_or_b32 v128, 0xffff0000, v26, v58
	v_ashrrev_i32_e32 v58, 16, v28
	v_and_or_b32 v129, 0xffff0000, v27, v131
	v_lshrrev_b32_e32 v27, 12, v28
	v_lshrrev_b32_e32 v26, 8, v28
	v_and_or_b32 v28, v28, 15, 0x4b000000
	v_lshrrev_b32_e32 v131, 4, v58
	v_lshrrev_b32_e32 v133, 8, v58
	v_and_or_b32 v27, v27, 15, 0x4b000000
	v_add_f32_e32 v130, 0xcb000008, v130
	v_lshrrev_b32_e32 v25, 16, v25
	v_and_or_b32 v131, v131, 15, 0x4b000000
	s_delay_alu instid0(VALU_DEP_4) | instskip(NEXT) | instid1(VALU_DEP_4)
	v_dual_add_f32 v28, 0xcb000008, v28 :: v_dual_add_f32 v27, 0xcb000008, v27
	v_and_or_b32 v130, 0xffff0000, v130, v132
	v_lshrrev_b32_e32 v132, 12, v58
	v_and_or_b32 v133, v133, 15, 0x4b000000
	v_and_or_b32 v26, v26, 15, 0x4b000000
	;; [unrolled: 1-line block ×3, first 2 shown]
	v_add_f32_e32 v131, 0xcb000008, v131
	v_and_or_b32 v132, v132, 15, 0x4b000000
	v_and_or_b32 v25, 0xffff0000, v28, v25
	v_add_f32_e32 v26, 0xcb000008, v26
	v_lshrrev_b32_e32 v27, 16, v27
	v_lshrrev_b32_e32 v131, 16, v131
	v_add_f32_e32 v28, 0xcb000008, v132
	v_add_f32_e32 v132, 0xcb000008, v133
	v_lshrrev_b32_e32 v133, 12, v79
	v_and_or_b32 v26, 0xffff0000, v26, v27
	s_delay_alu instid0(VALU_DEP_2) | instskip(SKIP_1) | instid1(VALU_DEP_1)
	v_and_or_b32 v133, v133, 15, 0x4b000000
	v_add_f32_e32 v58, 0xcb000008, v58
	v_and_or_b32 v27, 0xffff0000, v58, v131
	v_lshrrev_b32_e32 v58, 4, v79
	v_lshrrev_b32_e32 v131, 8, v79
	v_ashrrev_i32_e32 v79, 16, v79
	s_delay_alu instid0(VALU_DEP_3) | instskip(NEXT) | instid1(VALU_DEP_3)
	v_and_or_b32 v58, v58, 15, 0x4b000000
	v_and_or_b32 v131, v131, 15, 0x4b000000
	s_delay_alu instid0(VALU_DEP_3) | instskip(SKIP_1) | instid1(VALU_DEP_3)
	v_lshrrev_b32_e32 v135, 4, v79
	v_lshrrev_b32_e32 v136, 12, v79
	v_add_f32_e32 v137, 0xcb000008, v131
	v_add_f32_e32 v131, 0xcb000008, v133
	v_lshrrev_b32_e32 v133, 8, v79
	v_and_or_b32 v135, v135, 15, 0x4b000000
	v_and_or_b32 v79, v79, 15, 0x4b000000
	;; [unrolled: 1-line block ×3, first 2 shown]
	v_lshrrev_b32_e32 v138, 16, v131
	v_and_or_b32 v133, v133, 15, 0x4b000000
	v_dual_add_f32 v135, 0xcb000008, v135 :: v_dual_add_f32 v134, 0xcb000008, v134
	s_delay_alu instid0(VALU_DEP_4) | instskip(NEXT) | instid1(VALU_DEP_3)
	v_dual_add_f32 v79, 0xcb000008, v79 :: v_dual_add_f32 v136, 0xcb000008, v136
	v_add_f32_e32 v139, 0xcb000008, v133
	s_delay_alu instid0(VALU_DEP_3) | instskip(SKIP_1) | instid1(VALU_DEP_4)
	v_lshrrev_b32_e32 v133, 16, v135
	v_lshrrev_b32_e32 v28, 16, v28
	;; [unrolled: 1-line block ×3, first 2 shown]
	v_and_or_b32 v136, v80, 15, 0x4b000000
	s_delay_alu instid0(VALU_DEP_4) | instskip(SKIP_3) | instid1(VALU_DEP_3)
	v_and_or_b32 v133, 0xffff0000, v79, v133
	v_lshrrev_b32_e32 v79, 8, v80
	v_and_or_b32 v28, 0xffff0000, v132, v28
	v_and_or_b32 v132, 0xffff0000, v137, v138
	;; [unrolled: 1-line block ×3, first 2 shown]
	s_delay_alu instid0(VALU_DEP_1) | instskip(NEXT) | instid1(VALU_DEP_1)
	v_dual_add_f32 v58, 0xcb000008, v58 :: v_dual_add_f32 v79, 0xcb000008, v79
	v_lshrrev_b32_e32 v58, 16, v58
	s_delay_alu instid0(VALU_DEP_1) | instskip(SKIP_4) | instid1(VALU_DEP_3)
	v_and_or_b32 v131, 0xffff0000, v134, v58
	v_and_or_b32 v134, 0xffff0000, v139, v135
	v_lshrrev_b32_e32 v58, 4, v80
	v_lshrrev_b32_e32 v135, 12, v80
	v_ashrrev_i32_e32 v80, 16, v80
	v_and_or_b32 v58, v58, 15, 0x4b000000
	s_delay_alu instid0(VALU_DEP_3) | instskip(NEXT) | instid1(VALU_DEP_3)
	v_and_or_b32 v135, v135, 15, 0x4b000000
	v_lshrrev_b32_e32 v139, 8, v80
	v_lshrrev_b32_e32 v137, 4, v80
	v_lshrrev_b32_e32 v138, 12, v80
	v_and_or_b32 v80, v80, 15, 0x4b000000
	v_add_f32_e32 v135, 0xcb000008, v135
	v_and_or_b32 v139, v139, 15, 0x4b000000
	v_add_f32_e32 v58, 0xcb000008, v58
	;; [unrolled: 2-line block ×3, first 2 shown]
	v_and_or_b32 v138, v138, 15, 0x4b000000
	v_lshrrev_b32_e32 v140, 16, v135
	v_add_f32_e32 v139, 0xcb000008, v139
	v_lshrrev_b32_e32 v58, 16, v58
	s_delay_alu instid0(VALU_DEP_4) | instskip(NEXT) | instid1(VALU_DEP_2)
	v_dual_add_f32 v137, 0xcb000008, v137 :: v_dual_add_f32 v138, 0xcb000008, v138
	v_and_or_b32 v135, 0xffff0000, v136, v58
	v_and_or_b32 v136, 0xffff0000, v79, v140
	v_lshrrev_b32_e32 v79, 8, v81
	s_delay_alu instid0(VALU_DEP_4) | instskip(SKIP_2) | instid1(VALU_DEP_4)
	v_lshrrev_b32_e32 v137, 16, v137
	v_lshrrev_b32_e32 v138, 16, v138
	;; [unrolled: 1-line block ×3, first 2 shown]
	v_and_or_b32 v79, v79, 15, 0x4b000000
	v_add_f32_e32 v80, 0xcb000008, v80
	s_delay_alu instid0(VALU_DEP_4)
	v_and_or_b32 v138, 0xffff0000, v139, v138
	v_ashrrev_i32_e32 v139, 16, v81
	v_and_or_b32 v58, v58, 15, 0x4b000000
	v_add_f32_e32 v141, 0xcb000008, v79
	v_and_or_b32 v137, 0xffff0000, v80, v137
	v_lshrrev_b32_e32 v80, 12, v81
	v_lshrrev_b32_e32 v140, 4, v139
	v_and_or_b32 v81, v81, 15, 0x4b000000
	v_lshrrev_b32_e32 v142, 8, v139
	s_delay_alu instid0(VALU_DEP_4) | instskip(NEXT) | instid1(VALU_DEP_3)
	v_and_or_b32 v80, v80, 15, 0x4b000000
	v_dual_add_f32 v58, 0xcb000008, v58 :: v_dual_add_f32 v81, 0xcb000008, v81
	s_delay_alu instid0(VALU_DEP_3) | instskip(NEXT) | instid1(VALU_DEP_3)
	v_and_or_b32 v142, v142, 15, 0x4b000000
	v_add_f32_e32 v79, 0xcb000008, v80
	v_and_or_b32 v80, v140, 15, 0x4b000000
	v_lshrrev_b32_e32 v140, 12, v139
	v_and_or_b32 v139, v139, 15, 0x4b000000
	v_lshrrev_b32_e32 v58, 16, v58
	v_lshrrev_b32_e32 v143, 16, v79
	v_add_f32_e32 v80, 0xcb000008, v80
	v_and_or_b32 v140, v140, 15, 0x4b000000
	v_add_f32_e32 v139, 0xcb000008, v139
	v_and_or_b32 v79, 0xffff0000, v81, v58
	s_delay_alu instid0(VALU_DEP_4)
	v_lshrrev_b32_e32 v144, 16, v80
	v_and_or_b32 v80, 0xffff0000, v141, v143
	v_lshrrev_b32_e32 v141, 8, v82
	v_and_or_b32 v143, v82, 15, 0x4b000000
	v_add_f32_e32 v58, 0xcb000008, v140
	v_and_or_b32 v81, 0xffff0000, v139, v144
	v_lshrrev_b32_e32 v139, 4, v82
	v_and_or_b32 v141, v141, 15, 0x4b000000
	v_add_f32_e32 v143, 0xcb000008, v143
	v_lshrrev_b32_e32 v58, 16, v58
	s_delay_alu instid0(VALU_DEP_4) | instskip(SKIP_3) | instid1(VALU_DEP_4)
	v_and_or_b32 v139, v139, 15, 0x4b000000
	v_add_f32_e32 v140, 0xcb000008, v142
	v_lshrrev_b32_e32 v142, 12, v82
	v_ashrrev_i32_e32 v82, 16, v82
	v_add_f32_e32 v139, 0xcb000008, v139
	s_delay_alu instid0(VALU_DEP_3) | instskip(NEXT) | instid1(VALU_DEP_3)
	v_and_or_b32 v142, v142, 15, 0x4b000000
	v_lshrrev_b32_e32 v144, 4, v82
	v_lshrrev_b32_e32 v145, 12, v82
	;; [unrolled: 1-line block ×3, first 2 shown]
	s_delay_alu instid0(VALU_DEP_4) | instskip(NEXT) | instid1(VALU_DEP_4)
	v_dual_add_f32 v141, 0xcb000008, v141 :: v_dual_add_f32 v142, 0xcb000008, v142
	v_and_or_b32 v144, v144, 15, 0x4b000000
	s_delay_alu instid0(VALU_DEP_4) | instskip(SKIP_3) | instid1(VALU_DEP_4)
	v_and_or_b32 v145, v145, 15, 0x4b000000
	v_and_or_b32 v82, v82, 15, 0x4b000000
	;; [unrolled: 1-line block ×3, first 2 shown]
	v_lshrrev_b32_e32 v139, 16, v139
	v_dual_add_f32 v144, 0xcb000008, v144 :: v_dual_add_f32 v145, 0xcb000008, v145
	v_lshrrev_b32_e32 v142, 16, v142
	v_add_f32_e32 v147, 0xcb000008, v82
	v_add_f32_e32 v146, 0xcb000008, v146
	s_delay_alu instid0(VALU_DEP_4)
	v_lshrrev_b32_e32 v144, 16, v144
	v_lshrrev_b32_e32 v145, 16, v145
	v_and_or_b32 v82, 0xffff0000, v140, v58
	v_and_or_b32 v139, 0xffff0000, v143, v139
	;; [unrolled: 1-line block ×5, first 2 shown]
	; sched_barrier mask(0x00000000)
	s_barrier_signal -1
	s_barrier_wait -1
	; sched_barrier mask(0x00000000)
	v_wmma_f32_16x16x16_bf16 v[1:8], v[119:122], v[29:32], v[1:8]
	s_delay_alu instid0(VALU_DEP_1) | instskip(NEXT) | instid1(VALU_DEP_1)
	v_wmma_f32_16x16x16_bf16 v[1:8], v[123:126], v[33:36], v[1:8]
	v_wmma_f32_16x16x16_bf16 v[1:8], v[127:130], v[37:40], v[1:8]
	s_delay_alu instid0(VALU_DEP_1)
	v_wmma_f32_16x16x16_bf16 v[1:8], v[25:28], v[67:70], v[1:8]
	; sched_barrier mask(0x00000000)
	s_setprio 1
	; sched_barrier mask(0x00000000)
	; sched_barrier mask(0x00000000)
	s_wait_dscnt 0x0
	s_barrier_signal -1
	s_barrier_wait -1
	; sched_barrier mask(0x00000000)
	v_wmma_f32_16x16x16_bf16 v[1:8], v[131:134], v[71:74], v[1:8]
	s_delay_alu instid0(VALU_DEP_1) | instskip(NEXT) | instid1(VALU_DEP_1)
	v_wmma_f32_16x16x16_bf16 v[1:8], v[135:138], v[75:78], v[1:8]
	v_wmma_f32_16x16x16_bf16 v[1:8], v[79:82], v[83:86], v[1:8]
	s_delay_alu instid0(VALU_DEP_1)
	v_wmma_f32_16x16x16_bf16 v[1:8], v[139:142], v[87:90], v[1:8]
	; sched_barrier mask(0x00000000)
	s_setprio 0
	; sched_barrier mask(0x00000000)
	v_add_nc_u32_e32 v25, 0x80, v57
	v_lshrrev_b32_e32 v26, 31, v57
	v_add_nc_u32_e64 v58, 6, s7
	v_add_nc_u32_e32 v64, v64, v61
	v_add_nc_u32_e32 v104, 12, v104
	v_lshrrev_b32_e32 v27, 31, v25
	v_add_nc_u32_e32 v26, v57, v26
	v_sub_nc_u32_e32 v58, v58, v65
	v_add3_u32 v61, v66, v63, v115
	v_add_nc_u32_e32 v105, v105, v110
	v_add_nc_u32_e32 v25, v25, v27
	v_ashrrev_i32_e32 v33, 1, v26
	v_mad_co_u64_u32 v[57:58], null, v58, s12, v[57:58]
	v_add_nc_u32_e32 v114, 0x300, v114
	s_delay_alu instid0(VALU_DEP_4)
	v_ashrrev_i32_e32 v37, 1, v25
	v_add_nc_u32_e32 v111, 0x300, v111
	s_clause 0x1
	buffer_load_b128 v[25:28], v117, s[0:3], null offen offset:1280
	buffer_load_b128 v[29:32], v118, s[0:3], null offen
	s_clause 0x1
	buffer_load_b128 v[33:36], v33, s[8:11], null offen
	buffer_load_b128 v[37:40], v37, s[8:11], null offen
	v_add_nc_u32_e32 v62, v64, v62
	v_lshrrev_b32_e32 v58, 2, v104
	s_add_co_i32 s7, s7, 3
	s_wait_loadcnt 0xb
	ds_store_b128 v64, v[41:44]
	s_wait_loadcnt 0xa
	ds_store_b128 v62, v[45:48]
	s_wait_loadcnt 0x9
	ds_store_b128 v60, v[49:52] offset:4096
	s_wait_loadcnt 0x8
	ds_store_b128 v116, v[53:56] offset:4096
	s_wait_alu 0xfffe
	s_cmp_lt_i32 s7, s14
	s_cbranch_scc1 .LBB10_12
; %bb.13:
	s_wait_dscnt 0x0
	s_barrier_signal -1
	s_barrier_wait -1
	s_wait_loadcnt 0x1
	ds_load_b128 v[33:36], v102 offset:4096
	s_wait_loadcnt 0x0
	ds_load_b128 v[37:40], v94
	ds_load_b128 v[41:44], v95
	;; [unrolled: 1-line block ×8, first 2 shown]
	ds_load_b128 v[67:70], v93 offset:4096
	s_lshl_b64 s[0:1], s[20:21], 1
	s_mov_b32 s3, 0
	s_mov_b32 s2, s13
	s_add_nc_u64 s[8:9], s[16:17], s[0:1]
	s_mul_u64 s[2:3], s[18:19], s[2:3]
	s_wait_dscnt 0x9
	v_and_or_b32 v57, v33, 15, 0x4b000000
	v_lshrrev_b32_e32 v58, 4, v33
	v_lshrrev_b32_e32 v61, 8, v33
	;; [unrolled: 1-line block ×3, first 2 shown]
	v_ashrrev_i32_e32 v33, 16, v33
	v_lshrrev_b32_e32 v74, 4, v34
	v_and_or_b32 v58, v58, 15, 0x4b000000
	v_and_or_b32 v61, v61, 15, 0x4b000000
	;; [unrolled: 1-line block ×3, first 2 shown]
	v_lshrrev_b32_e32 v72, 4, v33
	s_delay_alu instid0(VALU_DEP_4) | instskip(SKIP_1) | instid1(VALU_DEP_4)
	v_dual_add_f32 v57, 0xcb000008, v57 :: v_dual_add_f32 v58, 0xcb000008, v58
	v_and_or_b32 v74, v74, 15, 0x4b000000
	v_add_f32_e32 v71, 0xcb000008, v71
	s_delay_alu instid0(VALU_DEP_4)
	v_and_or_b32 v72, v72, 15, 0x4b000000
	v_add_f32_e32 v61, 0xcb000008, v61
	v_lshrrev_b32_e32 v58, 16, v58
	v_add_f32_e32 v74, 0xcb000008, v74
	v_lshrrev_b32_e32 v76, 16, v71
	v_add_f32_e32 v72, 0xcb000008, v72
	v_and_or_b32 v73, v33, 15, 0x4b000000
	v_and_or_b32 v71, 0xffff0000, v57, v58
	v_lshrrev_b32_e32 v57, 8, v34
	v_lshrrev_b32_e32 v58, 12, v34
	;; [unrolled: 1-line block ×3, first 2 shown]
	v_and_or_b32 v72, 0xffff0000, v61, v76
	v_and_or_b32 v61, v34, 15, 0x4b000000
	v_ashrrev_i32_e32 v34, 16, v34
	v_lshrrev_b32_e32 v75, 8, v33
	v_lshrrev_b32_e32 v33, 12, v33
	v_and_or_b32 v58, v58, 15, 0x4b000000
	v_add_f32_e32 v73, 0xcb000008, v73
	v_lshrrev_b32_e32 v76, 4, v34
	v_and_or_b32 v57, v57, 15, 0x4b000000
	v_and_or_b32 v33, v33, 15, 0x4b000000
	v_add_f32_e32 v58, 0xcb000008, v58
	v_and_or_b32 v73, 0xffff0000, v73, v77
	v_lshrrev_b32_e32 v77, 12, v34
	v_and_or_b32 v76, v76, 15, 0x4b000000
	v_and_or_b32 v75, v75, 15, 0x4b000000
	v_add_f32_e32 v33, 0xcb000008, v33
	v_add_f32_e32 v57, 0xcb000008, v57
	v_lshrrev_b32_e32 v78, 8, v34
	v_and_or_b32 v77, v77, 15, 0x4b000000
	v_and_or_b32 v34, v34, 15, 0x4b000000
	v_add_f32_e32 v76, 0xcb000008, v76
	v_lshrrev_b32_e32 v58, 16, v58
	v_add_f32_e32 v75, 0xcb000008, v75
	v_lshrrev_b32_e32 v33, 16, v33
	v_lshrrev_b32_e32 v79, 16, v74
	v_and_or_b32 v74, v78, 15, 0x4b000000
	v_dual_add_f32 v77, 0xcb000008, v77 :: v_dual_add_f32 v34, 0xcb000008, v34
	v_lshrrev_b32_e32 v80, 16, v76
	v_and_or_b32 v76, 0xffff0000, v57, v58
	v_lshrrev_b32_e32 v57, 12, v35
	v_dual_add_f32 v61, 0xcb000008, v61 :: v_dual_add_f32 v78, 0xcb000008, v74
	v_lshrrev_b32_e32 v81, 16, v77
	v_and_or_b32 v74, 0xffff0000, v75, v33
	v_and_or_b32 v77, 0xffff0000, v34, v80
	v_lshrrev_b32_e32 v33, 4, v35
	v_lshrrev_b32_e32 v34, 8, v35
	v_and_or_b32 v58, v35, 15, 0x4b000000
	v_ashrrev_i32_e32 v35, 16, v35
	v_and_or_b32 v57, v57, 15, 0x4b000000
	v_and_or_b32 v75, 0xffff0000, v61, v79
	;; [unrolled: 1-line block ×4, first 2 shown]
	v_lshrrev_b32_e32 v80, 8, v35
	v_add_f32_e32 v57, 0xcb000008, v57
	v_lshrrev_b32_e32 v61, 4, v35
	v_add_f32_e32 v34, 0xcb000008, v34
	v_lshrrev_b32_e32 v79, 12, v35
	v_and_or_b32 v80, v80, 15, 0x4b000000
	v_lshrrev_b32_e32 v57, 16, v57
	v_add_f32_e32 v33, 0xcb000008, v33
	v_and_or_b32 v61, v61, 15, 0x4b000000
	v_and_or_b32 v79, v79, 15, 0x4b000000
	v_add_f32_e32 v82, 0xcb000008, v80
	v_and_or_b32 v80, 0xffff0000, v34, v57
	v_lshrrev_b32_e32 v34, 8, v36
	v_and_or_b32 v35, v35, 15, 0x4b000000
	v_add_f32_e32 v58, 0xcb000008, v58
	v_lshrrev_b32_e32 v33, 16, v33
	v_add_f32_e32 v79, 0xcb000008, v79
	v_and_or_b32 v34, v34, 15, 0x4b000000
	v_add_f32_e32 v61, 0xcb000008, v61
	v_add_f32_e32 v35, 0xcb000008, v35
	v_ashrrev_i32_e32 v57, 16, v36
	v_and_or_b32 v78, 0xffff0000, v78, v81
	v_add_f32_e32 v34, 0xcb000008, v34
	v_lshrrev_b32_e32 v61, 16, v61
	v_lshrrev_b32_e32 v83, 16, v79
	v_and_or_b32 v79, 0xffff0000, v58, v33
	v_lshrrev_b32_e32 v33, 4, v36
	v_lshrrev_b32_e32 v58, 4, v57
	v_and_or_b32 v81, 0xffff0000, v35, v61
	v_lshrrev_b32_e32 v35, 12, v36
	v_and_or_b32 v82, 0xffff0000, v82, v83
	v_and_or_b32 v33, v33, 15, 0x4b000000
	;; [unrolled: 1-line block ×5, first 2 shown]
	v_lshrrev_b32_e32 v61, 12, v57
	v_lshrrev_b32_e32 v83, 8, v57
	v_and_or_b32 v57, v57, 15, 0x4b000000
	s_delay_alu instid0(VALU_DEP_4)
	v_dual_add_f32 v58, 0xcb000008, v58 :: v_dual_add_f32 v35, 0xcb000008, v35
	s_wait_dscnt 0x0
	v_and_or_b32 v84, v67, 15, 0x4b000000
	v_dual_add_f32 v33, 0xcb000008, v33 :: v_dual_add_f32 v36, 0xcb000008, v36
	v_and_or_b32 v61, v61, 15, 0x4b000000
	v_lshrrev_b32_e32 v35, 16, v35
	v_and_or_b32 v83, v83, 15, 0x4b000000
	v_add_f32_e32 v57, 0xcb000008, v57
	v_lshrrev_b32_e32 v58, 16, v58
	v_add_f32_e32 v84, 0xcb000008, v84
	v_lshrrev_b32_e32 v33, 16, v33
	v_and_or_b32 v34, 0xffff0000, v34, v35
	s_delay_alu instid0(VALU_DEP_4) | instskip(SKIP_1) | instid1(VALU_DEP_4)
	v_and_or_b32 v35, 0xffff0000, v57, v58
	v_lshrrev_b32_e32 v57, 4, v67
	v_and_or_b32 v33, 0xffff0000, v36, v33
	v_dual_add_f32 v36, 0xcb000008, v61 :: v_dual_add_f32 v61, 0xcb000008, v83
	v_lshrrev_b32_e32 v83, 12, v67
	v_lshrrev_b32_e32 v58, 8, v67
	v_and_or_b32 v57, v57, 15, 0x4b000000
	v_ashrrev_i32_e32 v67, 16, v67
	v_lshrrev_b32_e32 v36, 16, v36
	v_and_or_b32 v83, v83, 15, 0x4b000000
	v_and_or_b32 v58, v58, 15, 0x4b000000
	v_add_f32_e32 v57, 0xcb000008, v57
	v_lshrrev_b32_e32 v85, 4, v67
	v_lshrrev_b32_e32 v86, 12, v67
	s_delay_alu instid0(VALU_DEP_4) | instskip(NEXT) | instid1(VALU_DEP_4)
	v_dual_add_f32 v83, 0xcb000008, v83 :: v_dual_add_f32 v58, 0xcb000008, v58
	v_lshrrev_b32_e32 v57, 16, v57
	s_delay_alu instid0(VALU_DEP_4) | instskip(SKIP_1) | instid1(VALU_DEP_4)
	v_and_or_b32 v85, v85, 15, 0x4b000000
	v_lshrrev_b32_e32 v87, 8, v67
	v_lshrrev_b32_e32 v88, 16, v83
	v_and_or_b32 v86, v86, 15, 0x4b000000
	v_and_or_b32 v67, v67, 15, 0x4b000000
	v_add_f32_e32 v85, 0xcb000008, v85
	v_and_or_b32 v83, 0xffff0000, v84, v57
	v_and_or_b32 v84, 0xffff0000, v58, v88
	v_lshrrev_b32_e32 v58, 8, v68
	v_and_or_b32 v87, v87, 15, 0x4b000000
	v_dual_add_f32 v86, 0xcb000008, v86 :: v_dual_add_f32 v67, 0xcb000008, v67
	v_lshrrev_b32_e32 v85, 16, v85
	s_delay_alu instid0(VALU_DEP_4) | instskip(NEXT) | instid1(VALU_DEP_4)
	v_and_or_b32 v58, v58, 15, 0x4b000000
	v_add_f32_e32 v87, 0xcb000008, v87
	s_delay_alu instid0(VALU_DEP_4)
	v_lshrrev_b32_e32 v86, 16, v86
	v_lshrrev_b32_e32 v57, 4, v68
	v_and_or_b32 v85, 0xffff0000, v67, v85
	v_and_or_b32 v67, v68, 15, 0x4b000000
	v_add_f32_e32 v58, 0xcb000008, v58
	v_and_or_b32 v36, 0xffff0000, v61, v36
	v_lshrrev_b32_e32 v61, 12, v68
	v_ashrrev_i32_e32 v68, 16, v68
	v_and_or_b32 v86, 0xffff0000, v87, v86
	v_and_or_b32 v57, v57, 15, 0x4b000000
	v_add_f32_e32 v67, 0xcb000008, v67
	v_and_or_b32 v61, v61, 15, 0x4b000000
	v_lshrrev_b32_e32 v87, 4, v68
	v_lshrrev_b32_e32 v88, 12, v68
	v_add_f32_e32 v57, 0xcb000008, v57
	v_lshrrev_b32_e32 v89, 8, v68
	v_add_f32_e32 v61, 0xcb000008, v61
	v_and_or_b32 v87, v87, 15, 0x4b000000
	v_and_or_b32 v88, v88, 15, 0x4b000000
	v_lshrrev_b32_e32 v57, 16, v57
	v_and_or_b32 v68, v68, 15, 0x4b000000
	v_and_or_b32 v89, v89, 15, 0x4b000000
	s_delay_alu instid0(VALU_DEP_4) | instskip(SKIP_1) | instid1(VALU_DEP_3)
	v_dual_add_f32 v87, 0xcb000008, v87 :: v_dual_add_f32 v88, 0xcb000008, v88
	v_lshrrev_b32_e32 v61, 16, v61
	v_dual_add_f32 v68, 0xcb000008, v68 :: v_dual_add_f32 v103, 0xcb000008, v89
	s_delay_alu instid0(VALU_DEP_3)
	v_lshrrev_b32_e32 v90, 16, v87
	v_and_or_b32 v87, 0xffff0000, v67, v57
	v_ashrrev_i32_e32 v67, 16, v69
	v_lshrrev_b32_e32 v104, 16, v88
	v_and_or_b32 v88, 0xffff0000, v58, v61
	v_and_or_b32 v89, 0xffff0000, v68, v90
	v_lshrrev_b32_e32 v57, 4, v69
	v_lshrrev_b32_e32 v58, 8, v69
	;; [unrolled: 1-line block ×3, first 2 shown]
	v_and_or_b32 v68, v69, 15, 0x4b000000
	v_lshrrev_b32_e32 v69, 4, v67
	v_and_or_b32 v57, v57, 15, 0x4b000000
	v_and_or_b32 v90, 0xffff0000, v103, v104
	;; [unrolled: 1-line block ×5, first 2 shown]
	v_add_f32_e32 v57, 0xcb000008, v57
	v_lshrrev_b32_e32 v103, 12, v67
	v_add_f32_e32 v61, 0xcb000008, v61
	v_lshrrev_b32_e32 v104, 8, v67
	v_and_or_b32 v67, v67, 15, 0x4b000000
	v_dual_add_f32 v69, 0xcb000008, v69 :: v_dual_add_f32 v68, 0xcb000008, v68
	v_add_f32_e32 v58, 0xcb000008, v58
	v_lshrrev_b32_e32 v57, 16, v57
	v_lshrrev_b32_e32 v61, 16, v61
	v_and_or_b32 v103, v103, 15, 0x4b000000
	v_and_or_b32 v104, v104, 15, 0x4b000000
	v_add_f32_e32 v105, 0xcb000008, v67
	v_lshrrev_b32_e32 v69, 16, v69
	v_and_or_b32 v67, 0xffff0000, v68, v57
	v_add_f32_e32 v57, 0xcb000008, v103
	v_and_or_b32 v68, 0xffff0000, v58, v61
	v_add_f32_e32 v58, 0xcb000008, v104
	v_and_or_b32 v69, 0xffff0000, v105, v69
	v_lshrrev_b32_e32 v61, 4, v70
	v_lshrrev_b32_e32 v103, 8, v70
	;; [unrolled: 1-line block ×3, first 2 shown]
	v_and_or_b32 v105, v70, 15, 0x4b000000
	v_ashrrev_i32_e32 v70, 16, v70
	v_and_or_b32 v61, v61, 15, 0x4b000000
	v_and_or_b32 v103, v103, 15, 0x4b000000
	;; [unrolled: 1-line block ×3, first 2 shown]
	v_lshrrev_b32_e32 v57, 16, v57
	v_lshrrev_b32_e32 v106, 4, v70
	;; [unrolled: 1-line block ×3, first 2 shown]
	s_delay_alu instid0(VALU_DEP_4) | instskip(SKIP_1) | instid1(VALU_DEP_4)
	v_dual_add_f32 v108, 0xcb000008, v103 :: v_dual_add_f32 v103, 0xcb000008, v104
	v_lshrrev_b32_e32 v104, 8, v70
	v_and_or_b32 v106, v106, 15, 0x4b000000
	s_delay_alu instid0(VALU_DEP_4) | instskip(SKIP_3) | instid1(VALU_DEP_4)
	v_and_or_b32 v107, v107, 15, 0x4b000000
	v_add_f32_e32 v61, 0xcb000008, v61
	v_and_or_b32 v70, v70, 15, 0x4b000000
	v_and_or_b32 v104, v104, 15, 0x4b000000
	v_dual_add_f32 v106, 0xcb000008, v106 :: v_dual_add_f32 v107, 0xcb000008, v107
	v_add_f32_e32 v105, 0xcb000008, v105
	v_lshrrev_b32_e32 v61, 16, v61
	v_lshrrev_b32_e32 v109, 16, v103
	v_dual_add_f32 v110, 0xcb000008, v70 :: v_dual_add_f32 v111, 0xcb000008, v104
	v_lshrrev_b32_e32 v106, 16, v106
	v_lshrrev_b32_e32 v107, 16, v107
	v_and_or_b32 v70, 0xffff0000, v58, v57
	v_and_or_b32 v103, 0xffff0000, v105, v61
	;; [unrolled: 1-line block ×5, first 2 shown]
	; sched_barrier mask(0x00000000)
	s_barrier_signal -1
	s_barrier_wait -1
	; sched_barrier mask(0x00000000)
	v_wmma_f32_16x16x16_bf16 v[1:8], v[71:74], v[37:40], v[1:8]
	s_delay_alu instid0(VALU_DEP_1) | instskip(NEXT) | instid1(VALU_DEP_1)
	v_wmma_f32_16x16x16_bf16 v[1:8], v[75:78], v[41:44], v[1:8]
	v_wmma_f32_16x16x16_bf16 v[1:8], v[79:82], v[45:48], v[1:8]
	s_delay_alu instid0(VALU_DEP_1)
	v_wmma_f32_16x16x16_bf16 v[1:8], v[33:36], v[49:52], v[1:8]
	; sched_barrier mask(0x00000000)
	s_setprio 1
	; sched_barrier mask(0x00000000)
	; sched_barrier mask(0x00000000)
	s_wait_dscnt 0x0
	s_barrier_signal -1
	s_barrier_wait -1
	; sched_barrier mask(0x00000000)
	v_wmma_f32_16x16x16_bf16 v[1:8], v[83:86], v[53:56], v[1:8]
	s_delay_alu instid0(VALU_DEP_1) | instskip(NEXT) | instid1(VALU_DEP_1)
	v_wmma_f32_16x16x16_bf16 v[1:8], v[87:90], v[63:66], v[1:8]
	v_wmma_f32_16x16x16_bf16 v[1:8], v[67:70], v[29:32], v[1:8]
	s_delay_alu instid0(VALU_DEP_1) | instskip(SKIP_2) | instid1(VALU_DEP_1)
	v_wmma_f32_16x16x16_bf16 v[1:8], v[103:106], v[25:28], v[1:8]
	; sched_barrier mask(0x00000000)
	s_setprio 0
	; sched_barrier mask(0x00000000)
	v_lshl_add_u32 v25, v115, 1, v62
	v_lshl_add_u32 v26, v59, 1, v25
	ds_store_b128 v25, v[21:24]
	ds_store_b128 v26, v[17:20] offset:256
	ds_store_b128 v60, v[13:16] offset:4096
	;; [unrolled: 1-line block ×3, first 2 shown]
	s_wait_dscnt 0x0
	s_barrier_signal -1
	s_barrier_wait -1
	ds_load_b128 v[17:20], v102 offset:4096
	ds_load_b128 v[21:24], v94
	ds_load_b128 v[25:28], v95
	;; [unrolled: 1-line block ×8, first 2 shown]
	ds_load_b128 v[45:48], v93 offset:4096
	s_wait_dscnt 0x9
	v_and_or_b32 v49, v17, 15, 0x4b000000
	v_lshrrev_b32_e32 v50, 4, v17
	v_lshrrev_b32_e32 v51, 8, v17
	;; [unrolled: 1-line block ×3, first 2 shown]
	v_ashrrev_i32_e32 v17, 16, v17
	v_and_or_b32 v53, v18, 15, 0x4b000000
	v_and_or_b32 v50, v50, 15, 0x4b000000
	;; [unrolled: 1-line block ×4, first 2 shown]
	v_lshrrev_b32_e32 v58, 4, v17
	s_delay_alu instid0(VALU_DEP_4) | instskip(SKIP_1) | instid1(VALU_DEP_4)
	v_dual_add_f32 v49, 0xcb000008, v49 :: v_dual_add_f32 v50, 0xcb000008, v50
	v_and_or_b32 v57, v17, 15, 0x4b000000
	v_dual_add_f32 v51, 0xcb000008, v51 :: v_dual_add_f32 v52, 0xcb000008, v52
	s_delay_alu instid0(VALU_DEP_4)
	v_and_or_b32 v58, v58, 15, 0x4b000000
	v_lshrrev_b32_e32 v54, 4, v18
	v_lshrrev_b32_e32 v55, 8, v18
	;; [unrolled: 1-line block ×3, first 2 shown]
	v_ashrrev_i32_e32 v18, 16, v18
	v_dual_add_f32 v58, 0xcb000008, v58 :: v_dual_add_f32 v57, 0xcb000008, v57
	v_lshrrev_b32_e32 v50, 16, v50
	v_lshrrev_b32_e32 v52, 16, v52
	;; [unrolled: 1-line block ×3, first 2 shown]
	s_delay_alu instid0(VALU_DEP_4)
	v_lshrrev_b32_e32 v58, 16, v58
	v_lshrrev_b32_e32 v17, 12, v17
	v_and_or_b32 v49, 0xffff0000, v49, v50
	v_and_or_b32 v50, 0xffff0000, v51, v52
	;; [unrolled: 1-line block ×4, first 2 shown]
	v_lshrrev_b32_e32 v56, 4, v18
	v_lshrrev_b32_e32 v57, 12, v18
	v_and_or_b32 v54, v54, 15, 0x4b000000
	v_and_or_b32 v59, v59, 15, 0x4b000000
	;; [unrolled: 1-line block ×3, first 2 shown]
	v_lshrrev_b32_e32 v58, 8, v18
	v_and_or_b32 v56, v56, 15, 0x4b000000
	v_and_or_b32 v57, v57, 15, 0x4b000000
	;; [unrolled: 1-line block ×3, first 2 shown]
	v_dual_add_f32 v17, 0xcb000008, v17 :: v_dual_add_f32 v54, 0xcb000008, v54
	v_dual_add_f32 v59, 0xcb000008, v59 :: v_dual_add_f32 v52, 0xcb000008, v52
	;; [unrolled: 1-line block ×3, first 2 shown]
	v_and_or_b32 v18, v18, 15, 0x4b000000
	v_and_or_b32 v58, v58, 15, 0x4b000000
	v_add_f32_e32 v57, 0xcb000008, v57
	v_lshrrev_b32_e32 v17, 16, v17
	s_delay_alu instid0(VALU_DEP_4)
	v_dual_add_f32 v55, 0xcb000008, v55 :: v_dual_add_f32 v18, 0xcb000008, v18
	v_lshrrev_b32_e32 v54, 16, v54
	v_lshrrev_b32_e32 v60, 16, v52
	v_add_f32_e32 v58, 0xcb000008, v58
	v_lshrrev_b32_e32 v56, 16, v56
	v_lshrrev_b32_e32 v57, 16, v57
	v_and_or_b32 v52, 0xffff0000, v59, v17
	v_and_or_b32 v53, 0xffff0000, v53, v54
	;; [unrolled: 1-line block ×5, first 2 shown]
	v_lshrrev_b32_e32 v17, 4, v19
	v_lshrrev_b32_e32 v18, 8, v19
	;; [unrolled: 1-line block ×3, first 2 shown]
	v_and_or_b32 v58, v19, 15, 0x4b000000
	v_ashrrev_i32_e32 v19, 16, v19
	v_and_or_b32 v17, v17, 15, 0x4b000000
	v_and_or_b32 v18, v18, 15, 0x4b000000
	;; [unrolled: 1-line block ×3, first 2 shown]
	v_add_f32_e32 v58, 0xcb000008, v58
	v_lshrrev_b32_e32 v59, 4, v19
	v_add_f32_e32 v17, 0xcb000008, v17
	v_lshrrev_b32_e32 v60, 12, v19
	v_dual_add_f32 v18, 0xcb000008, v18 :: v_dual_add_f32 v57, 0xcb000008, v57
	s_delay_alu instid0(VALU_DEP_4) | instskip(SKIP_1) | instid1(VALU_DEP_4)
	v_and_or_b32 v59, v59, 15, 0x4b000000
	v_lshrrev_b32_e32 v61, 8, v19
	v_and_or_b32 v60, v60, 15, 0x4b000000
	v_lshrrev_b32_e32 v17, 16, v17
	v_lshrrev_b32_e32 v62, 16, v57
	v_add_f32_e32 v59, 0xcb000008, v59
	v_and_or_b32 v61, v61, 15, 0x4b000000
	v_add_f32_e32 v60, 0xcb000008, v60
	v_and_or_b32 v57, 0xffff0000, v58, v17
	v_and_or_b32 v58, 0xffff0000, v18, v62
	v_lshrrev_b32_e32 v18, 8, v20
	v_and_or_b32 v19, v19, 15, 0x4b000000
	v_lshrrev_b32_e32 v60, 16, v60
	v_lshrrev_b32_e32 v59, 16, v59
	;; [unrolled: 1-line block ×3, first 2 shown]
	v_and_or_b32 v18, v18, 15, 0x4b000000
	v_add_f32_e32 v61, 0xcb000008, v61
	v_add_f32_e32 v19, 0xcb000008, v19
	s_wait_dscnt 0x0
	v_and_or_b32 v65, v45, 15, 0x4b000000
	v_and_or_b32 v17, v17, 15, 0x4b000000
	v_add_f32_e32 v18, 0xcb000008, v18
	v_and_or_b32 v60, 0xffff0000, v61, v60
	v_ashrrev_i32_e32 v61, 16, v20
	v_and_or_b32 v59, 0xffff0000, v19, v59
	v_lshrrev_b32_e32 v19, 12, v20
	v_and_or_b32 v20, v20, 15, 0x4b000000
	v_and_or_b32 v74, v48, 15, 0x4b000000
	v_lshrrev_b32_e32 v62, 4, v61
	v_lshrrev_b32_e32 v63, 12, v61
	v_and_or_b32 v19, v19, 15, 0x4b000000
	v_lshrrev_b32_e32 v64, 8, v61
	v_and_or_b32 v61, v61, 15, 0x4b000000
	v_and_or_b32 v62, v62, 15, 0x4b000000
	v_add_f32_e32 v17, 0xcb000008, v17
	v_dual_add_f32 v19, 0xcb000008, v19 :: v_dual_add_f32 v20, 0xcb000008, v20
	v_and_or_b32 v63, v63, 15, 0x4b000000
	s_delay_alu instid0(VALU_DEP_4) | instskip(NEXT) | instid1(VALU_DEP_4)
	v_add_f32_e32 v62, 0xcb000008, v62
	v_lshrrev_b32_e32 v17, 16, v17
	s_delay_alu instid0(VALU_DEP_4)
	v_lshrrev_b32_e32 v19, 16, v19
	v_and_or_b32 v64, v64, 15, 0x4b000000
	v_add_f32_e32 v61, 0xcb000008, v61
	v_lshrrev_b32_e32 v62, 16, v62
	v_and_or_b32 v17, 0xffff0000, v20, v17
	v_add_f32_e32 v20, 0xcb000008, v63
	v_and_or_b32 v18, 0xffff0000, v18, v19
	v_add_f32_e32 v63, 0xcb000008, v64
	v_and_or_b32 v19, 0xffff0000, v61, v62
	v_lshrrev_b32_e32 v61, 4, v45
	v_lshrrev_b32_e32 v62, 8, v45
	;; [unrolled: 1-line block ×3, first 2 shown]
	v_ashrrev_i32_e32 v45, 16, v45
	v_lshrrev_b32_e32 v20, 16, v20
	v_and_or_b32 v61, v61, 15, 0x4b000000
	v_and_or_b32 v62, v62, 15, 0x4b000000
	;; [unrolled: 1-line block ×3, first 2 shown]
	v_lshrrev_b32_e32 v68, 8, v45
	v_add_f32_e32 v65, 0xcb000008, v65
	v_lshrrev_b32_e32 v66, 4, v45
	v_lshrrev_b32_e32 v67, 12, v45
	v_add_f32_e32 v64, 0xcb000008, v64
	v_and_or_b32 v68, v68, 15, 0x4b000000
	v_add_f32_e32 v61, 0xcb000008, v61
	v_and_or_b32 v66, v66, 15, 0x4b000000
	v_and_or_b32 v67, v67, 15, 0x4b000000
	;; [unrolled: 1-line block ×3, first 2 shown]
	v_add_f32_e32 v68, 0xcb000008, v68
	v_lshrrev_b32_e32 v61, 16, v61
	v_add_f32_e32 v66, 0xcb000008, v66
	v_add_f32_e32 v62, 0xcb000008, v62
	v_lshrrev_b32_e32 v64, 16, v64
	v_add_f32_e32 v45, 0xcb000008, v45
	v_and_or_b32 v61, 0xffff0000, v65, v61
	v_lshrrev_b32_e32 v65, 8, v46
	v_lshrrev_b32_e32 v66, 16, v66
	v_and_or_b32 v20, 0xffff0000, v63, v20
	v_and_or_b32 v62, 0xffff0000, v62, v64
	v_add_f32_e32 v74, 0xcb000008, v74
	v_and_or_b32 v65, v65, 15, 0x4b000000
	v_add_f32_e32 v67, 0xcb000008, v67
	v_and_or_b32 v63, 0xffff0000, v45, v66
	v_lshrrev_b32_e32 v45, 4, v46
	v_lshrrev_b32_e32 v66, 12, v46
	v_add_f32_e32 v70, 0xcb000008, v65
	v_lshrrev_b32_e32 v67, 16, v67
	s_delay_alu instid0(VALU_DEP_4) | instskip(NEXT) | instid1(VALU_DEP_4)
	v_and_or_b32 v45, v45, 15, 0x4b000000
	v_and_or_b32 v66, v66, 15, 0x4b000000
	s_delay_alu instid0(VALU_DEP_3) | instskip(SKIP_2) | instid1(VALU_DEP_4)
	v_and_or_b32 v64, 0xffff0000, v68, v67
	v_and_or_b32 v67, v46, 15, 0x4b000000
	v_ashrrev_i32_e32 v46, 16, v46
	v_add_f32_e32 v65, 0xcb000008, v66
	s_delay_alu instid0(VALU_DEP_2) | instskip(SKIP_1) | instid1(VALU_DEP_3)
	v_lshrrev_b32_e32 v68, 4, v46
	v_lshrrev_b32_e32 v69, 12, v46
	;; [unrolled: 1-line block ×3, first 2 shown]
	s_delay_alu instid0(VALU_DEP_3)
	v_and_or_b32 v66, v68, 15, 0x4b000000
	v_lshrrev_b32_e32 v68, 8, v46
	v_and_or_b32 v46, v46, 15, 0x4b000000
	v_add_f32_e32 v67, 0xcb000008, v67
	v_and_or_b32 v69, v69, 15, 0x4b000000
	v_add_f32_e32 v66, 0xcb000008, v66
	v_and_or_b32 v68, v68, 15, 0x4b000000
	v_dual_add_f32 v45, 0xcb000008, v45 :: v_dual_add_f32 v46, 0xcb000008, v46
	s_delay_alu instid0(VALU_DEP_3) | instskip(NEXT) | instid1(VALU_DEP_3)
	v_lshrrev_b32_e32 v72, 16, v66
	v_add_f32_e32 v68, 0xcb000008, v68
	s_delay_alu instid0(VALU_DEP_3) | instskip(SKIP_2) | instid1(VALU_DEP_3)
	v_lshrrev_b32_e32 v45, 16, v45
	v_and_or_b32 v66, 0xffff0000, v70, v71
	v_ashrrev_i32_e32 v70, 16, v47
	v_and_or_b32 v65, 0xffff0000, v67, v45
	v_and_or_b32 v67, 0xffff0000, v46, v72
	v_lshrrev_b32_e32 v46, 8, v47
	v_lshrrev_b32_e32 v45, 4, v47
	;; [unrolled: 1-line block ×5, first 2 shown]
	v_and_or_b32 v46, v46, 15, 0x4b000000
	v_add_f32_e32 v69, 0xcb000008, v69
	v_and_or_b32 v45, v45, 15, 0x4b000000
	v_and_or_b32 v71, v71, 15, 0x4b000000
	;; [unrolled: 1-line block ×3, first 2 shown]
	v_add_f32_e32 v46, 0xcb000008, v46
	v_lshrrev_b32_e32 v69, 16, v69
	v_add_f32_e32 v45, 0xcb000008, v45
	s_delay_alu instid0(VALU_DEP_4) | instskip(SKIP_1) | instid1(VALU_DEP_4)
	v_dual_add_f32 v71, 0xcb000008, v71 :: v_dual_add_f32 v70, 0xcb000008, v70
	v_and_or_b32 v72, v72, 15, 0x4b000000
	v_and_or_b32 v68, 0xffff0000, v68, v69
	v_lshrrev_b32_e32 v69, 12, v47
	v_and_or_b32 v47, v47, 15, 0x4b000000
	v_lshrrev_b32_e32 v45, 16, v45
	v_lshrrev_b32_e32 v71, 16, v71
	v_and_or_b32 v73, v73, 15, 0x4b000000
	v_and_or_b32 v69, v69, 15, 0x4b000000
	v_dual_add_f32 v47, 0xcb000008, v47 :: v_dual_add_f32 v72, 0xcb000008, v72
	s_delay_alu instid0(VALU_DEP_1) | instskip(SKIP_2) | instid1(VALU_DEP_4)
	v_and_or_b32 v45, 0xffff0000, v47, v45
	v_and_or_b32 v47, 0xffff0000, v70, v71
	v_lshrrev_b32_e32 v70, 4, v48
	v_lshrrev_b32_e32 v71, 16, v72
	v_lshrrev_b32_e32 v72, 8, v48
	s_delay_alu instid0(VALU_DEP_3) | instskip(SKIP_1) | instid1(VALU_DEP_3)
	v_and_or_b32 v70, v70, 15, 0x4b000000
	v_add_f32_e32 v69, 0xcb000008, v69
	v_and_or_b32 v72, v72, 15, 0x4b000000
	s_delay_alu instid0(VALU_DEP_3) | instskip(NEXT) | instid1(VALU_DEP_3)
	v_add_f32_e32 v70, 0xcb000008, v70
	v_lshrrev_b32_e32 v69, 16, v69
	s_delay_alu instid0(VALU_DEP_3) | instskip(NEXT) | instid1(VALU_DEP_3)
	v_add_f32_e32 v72, 0xcb000008, v72
	v_lshrrev_b32_e32 v70, 16, v70
	s_delay_alu instid0(VALU_DEP_3) | instskip(SKIP_3) | instid1(VALU_DEP_2)
	v_and_or_b32 v46, 0xffff0000, v46, v69
	v_add_f32_e32 v69, 0xcb000008, v73
	v_lshrrev_b32_e32 v73, 12, v48
	v_ashrrev_i32_e32 v48, 16, v48
	v_and_or_b32 v73, v73, 15, 0x4b000000
	s_delay_alu instid0(VALU_DEP_2)
	v_lshrrev_b32_e32 v75, 4, v48
	v_lshrrev_b32_e32 v76, 12, v48
	;; [unrolled: 1-line block ×3, first 2 shown]
	v_and_or_b32 v48, v48, 15, 0x4b000000
	v_add_f32_e32 v73, 0xcb000008, v73
	v_and_or_b32 v75, v75, 15, 0x4b000000
	v_and_or_b32 v76, v76, 15, 0x4b000000
	;; [unrolled: 1-line block ×3, first 2 shown]
	v_add_f32_e32 v78, 0xcb000008, v48
	v_lshrrev_b32_e32 v73, 16, v73
	s_delay_alu instid0(VALU_DEP_4) | instskip(NEXT) | instid1(VALU_DEP_4)
	v_dual_add_f32 v75, 0xcb000008, v75 :: v_dual_add_f32 v76, 0xcb000008, v76
	v_add_f32_e32 v77, 0xcb000008, v77
	v_and_or_b32 v48, 0xffff0000, v69, v71
	v_and_or_b32 v69, 0xffff0000, v74, v70
	s_delay_alu instid0(VALU_DEP_4) | instskip(SKIP_2) | instid1(VALU_DEP_3)
	v_lshrrev_b32_e32 v75, 16, v75
	v_lshrrev_b32_e32 v76, 16, v76
	v_and_or_b32 v70, 0xffff0000, v72, v73
	v_and_or_b32 v71, 0xffff0000, v78, v75
	s_delay_alu instid0(VALU_DEP_3) | instskip(SKIP_3) | instid1(VALU_DEP_1)
	v_and_or_b32 v72, 0xffff0000, v77, v76
	; sched_barrier mask(0x00000000)
	s_barrier_signal -1
	s_barrier_wait -1
	; sched_barrier mask(0x00000000)
	v_wmma_f32_16x16x16_bf16 v[1:8], v[49:52], v[21:24], v[1:8]
	v_wmma_f32_16x16x16_bf16 v[1:8], v[53:56], v[25:28], v[1:8]
	s_delay_alu instid0(VALU_DEP_1) | instskip(NEXT) | instid1(VALU_DEP_1)
	v_wmma_f32_16x16x16_bf16 v[1:8], v[57:60], v[29:32], v[1:8]
	v_wmma_f32_16x16x16_bf16 v[1:8], v[17:20], v[33:36], v[1:8]
	; sched_barrier mask(0x00000000)
	s_setprio 1
	; sched_barrier mask(0x00000000)
	; sched_barrier mask(0x00000000)
	s_wait_dscnt 0x0
	s_barrier_signal -1
	s_barrier_wait -1
	; sched_barrier mask(0x00000000)
	v_wmma_f32_16x16x16_bf16 v[1:8], v[61:64], v[37:40], v[1:8]
	s_delay_alu instid0(VALU_DEP_1) | instskip(NEXT) | instid1(VALU_DEP_1)
	v_wmma_f32_16x16x16_bf16 v[1:8], v[65:68], v[41:44], v[1:8]
	v_wmma_f32_16x16x16_bf16 v[1:8], v[45:48], v[13:16], v[1:8]
	s_delay_alu instid0(VALU_DEP_1) | instskip(SKIP_1) | instid1(VALU_DEP_1)
	v_wmma_f32_16x16x16_bf16 v[1:8], v[69:72], v[9:12], v[1:8]
	; sched_barrier mask(0x00000000)
	s_setprio 0
	; sched_barrier mask(0x00000000)
	v_bfe_u32 v12, v1, 16, 1
	s_delay_alu instid0(VALU_DEP_2)
	v_bfe_u32 v20, v7, 16, 1
	v_or_b32_e32 v13, 0x400000, v1
	v_bfe_u32 v17, v3, 16, 1
	v_cmp_u_f32_e32 vcc_lo, v1, v1
	v_add3_u32 v12, v12, v1, 0x7fff
	v_lshlrev_b32_e32 v9, 3, v0
	v_add3_u32 v20, v20, v7, 0x7fff
	v_or_b32_e32 v21, 0x400000, v7
	v_lshlrev_b32_e32 v0, 7, v0
	v_bfe_u32 v16, v2, 16, 1
	v_cndmask_b32_e32 v12, v12, v13, vcc_lo
	v_add3_u32 v1, v17, v3, 0x7fff
	v_or_b32_e32 v13, 0x400000, v3
	v_and_b32_e32 v0, 0x780, v0
	v_cmp_u_f32_e32 vcc_lo, v3, v3
	v_and_b32_e32 v10, 56, v92
	v_bfe_u32 v17, v5, 16, 1
	v_bfe_u32 v19, v6, 16, 1
	v_or_b32_e32 v22, 0x400000, v8
	s_wait_alu 0xfffd
	v_cndmask_b32_e32 v1, v1, v13, vcc_lo
	v_lshl_or_b32 v10, v10, 1, v0
	v_add3_u32 v0, v16, v2, 0x7fff
	v_bfe_u32 v16, v4, 16, 1
	v_add3_u32 v13, v17, v5, 0x7fff
	v_cmp_u_f32_e32 vcc_lo, v5, v5
	v_or_b32_e32 v17, 0x400000, v4
	v_or_b32_e32 v18, 0x400000, v2
	v_add3_u32 v3, v16, v4, 0x7fff
	v_or_b32_e32 v16, 0x400000, v5
	v_lshl_or_b32 v11, s15, 4, v91
	s_wait_dscnt 0x0
	s_barrier_signal -1
	s_barrier_wait -1
	s_wait_alu 0xfffd
	v_cndmask_b32_e32 v5, v13, v16, vcc_lo
	v_add3_u32 v16, v19, v6, 0x7fff
	v_or_b32_e32 v19, 0x400000, v6
	v_cmp_u_f32_e32 vcc_lo, v6, v6
	v_and_b32_e32 v9, 56, v9
	v_bfe_u32 v13, v8, 16, 1
	v_mul_lo_u32 v14, v11, s13
	v_cmp_gt_i32_e64 s0, s4, v11
	s_wait_alu 0xfffd
	v_cndmask_b32_e32 v6, v16, v19, vcc_lo
	v_cmp_u_f32_e32 vcc_lo, v7, v7
	v_add3_u32 v13, v13, v8, 0x7fff
	v_or_b32_e32 v15, s6, v9
	s_and_b32 s9, s9, 0xffff
	s_mov_b32 s11, 0x31004000
	s_wait_alu 0xfffd
	v_cndmask_b32_e32 v7, v20, v21, vcc_lo
	v_cmp_u_f32_e32 vcc_lo, v8, v8
	s_wait_alu 0xfffd
	v_cndmask_b32_e32 v8, v13, v22, vcc_lo
	v_cmp_u_f32_e32 vcc_lo, v4, v4
	;; [unrolled: 3-line block ×3, first 2 shown]
	v_perm_b32 v3, v8, v7, 0x7060302
	v_perm_b32 v2, v6, v5, 0x7060302
	s_delay_alu instid0(VALU_DEP_4) | instskip(SKIP_4) | instid1(VALU_DEP_3)
	v_perm_b32 v1, v4, v1, 0x7060302
	s_wait_alu 0xfffd
	v_cndmask_b32_e32 v0, v0, v18, vcc_lo
	v_lshlrev_b32_e32 v4, 1, v9
	v_cmp_gt_i32_e32 vcc_lo, s5, v15
	v_perm_b32 v0, v0, v12, 0x7060302
	s_delay_alu instid0(VALU_DEP_3) | instskip(SKIP_1) | instid1(SALU_CYCLE_1)
	v_lshl_or_b32 v4, v91, 7, v4
	s_and_b32 s2, s0, vcc_lo
	v_cndmask_b32_e64 v5, 0x80000000, 0, s2
	ds_store_b128 v10, v[0:3]
	s_wait_dscnt 0x0
	s_barrier_signal -1
	s_barrier_wait -1
	ds_load_b128 v[0:3], v4
	v_or_b32_e32 v4, 4, v15
	s_delay_alu instid0(VALU_DEP_1) | instskip(SKIP_2) | instid1(VALU_DEP_1)
	v_cmp_gt_i32_e64 s1, s5, v4
	v_add_lshl_u32 v4, v14, v15, 1
	s_and_b32 s0, s0, s1
	v_add_nc_u32_e32 v5, v5, v4
	v_cndmask_b32_e64 v6, 0x80000000, 0, s0
	s_add_co_i32 s0, s5, s3
	s_wait_alu 0xfffe
	s_lshl_b32 s10, s0, 1
	s_delay_alu instid0(VALU_DEP_1)
	v_add_nc_u32_e32 v4, v4, v6
	s_wait_dscnt 0x0
	s_clause 0x1
	buffer_store_b64 v[0:1], v5, s[8:11], null offen
	buffer_store_b64 v[2:3], v4, s[8:11], null offen offset:8
	s_nop 0
	s_sendmsg sendmsg(MSG_DEALLOC_VGPRS)
	s_endpgm
	.section	.rodata,"a",@progbits
	.p2align	6, 0x0
	.amdhsa_kernel _ZN2ck27kernel_gemm_xdl_cshuffle_v3INS_28GridwiseGemm_xdl_cshuffle_v3INS_13tensor_layout4gemm8RowMajorENS3_11ColumnMajorES4_DF16bNS_7pk_i4_tEfDF16bDF16bNS_16tensor_operation12element_wise11PassThroughES9_S9_LNS7_6device18GemmSpecializationE0ELi128ELi16ELi64ELi128ELi8ELi32ELi16ELi16ELi1ELi1ENS_8SequenceIJLi16ELi8ELi1EEEENSC_IJLi1ELi0ELi2EEEESE_Li2ELi8ELi8ELb0ELi0ENSC_IJLi4ELi32ELi1EEEESE_SE_Li2ELi32ELi32ELb0ELi0ELi1ELi1ENSC_IJLi1ELi16ELi1ELi8EEEELi4ELNS_26BlockGemmPipelineSchedulerE1ELNS_24BlockGemmPipelineVersionE1EDF16bDF16bLb0ELb1ELb0ELi0ELb0EEELb1ELNS_25InMemoryDataOperationEnumE0ELi2ELNS_10TailNumberE3EEEvNT_8ArgumentE
		.amdhsa_group_segment_fixed_size 8192
		.amdhsa_private_segment_fixed_size 0
		.amdhsa_kernarg_size 112
		.amdhsa_user_sgpr_count 2
		.amdhsa_user_sgpr_dispatch_ptr 0
		.amdhsa_user_sgpr_queue_ptr 0
		.amdhsa_user_sgpr_kernarg_segment_ptr 1
		.amdhsa_user_sgpr_dispatch_id 0
		.amdhsa_user_sgpr_private_segment_size 0
		.amdhsa_wavefront_size32 1
		.amdhsa_uses_dynamic_stack 0
		.amdhsa_enable_private_segment 0
		.amdhsa_system_sgpr_workgroup_id_x 1
		.amdhsa_system_sgpr_workgroup_id_y 0
		.amdhsa_system_sgpr_workgroup_id_z 1
		.amdhsa_system_sgpr_workgroup_info 0
		.amdhsa_system_vgpr_workitem_id 0
		.amdhsa_next_free_vgpr 148
		.amdhsa_next_free_sgpr 30
		.amdhsa_reserve_vcc 1
		.amdhsa_float_round_mode_32 0
		.amdhsa_float_round_mode_16_64 0
		.amdhsa_float_denorm_mode_32 3
		.amdhsa_float_denorm_mode_16_64 3
		.amdhsa_fp16_overflow 0
		.amdhsa_workgroup_processor_mode 1
		.amdhsa_memory_ordered 1
		.amdhsa_forward_progress 1
		.amdhsa_inst_pref_size 116
		.amdhsa_round_robin_scheduling 0
		.amdhsa_exception_fp_ieee_invalid_op 0
		.amdhsa_exception_fp_denorm_src 0
		.amdhsa_exception_fp_ieee_div_zero 0
		.amdhsa_exception_fp_ieee_overflow 0
		.amdhsa_exception_fp_ieee_underflow 0
		.amdhsa_exception_fp_ieee_inexact 0
		.amdhsa_exception_int_div_zero 0
	.end_amdhsa_kernel
	.section	.text._ZN2ck27kernel_gemm_xdl_cshuffle_v3INS_28GridwiseGemm_xdl_cshuffle_v3INS_13tensor_layout4gemm8RowMajorENS3_11ColumnMajorES4_DF16bNS_7pk_i4_tEfDF16bDF16bNS_16tensor_operation12element_wise11PassThroughES9_S9_LNS7_6device18GemmSpecializationE0ELi128ELi16ELi64ELi128ELi8ELi32ELi16ELi16ELi1ELi1ENS_8SequenceIJLi16ELi8ELi1EEEENSC_IJLi1ELi0ELi2EEEESE_Li2ELi8ELi8ELb0ELi0ENSC_IJLi4ELi32ELi1EEEESE_SE_Li2ELi32ELi32ELb0ELi0ELi1ELi1ENSC_IJLi1ELi16ELi1ELi8EEEELi4ELNS_26BlockGemmPipelineSchedulerE1ELNS_24BlockGemmPipelineVersionE1EDF16bDF16bLb0ELb1ELb0ELi0ELb0EEELb1ELNS_25InMemoryDataOperationEnumE0ELi2ELNS_10TailNumberE3EEEvNT_8ArgumentE,"axG",@progbits,_ZN2ck27kernel_gemm_xdl_cshuffle_v3INS_28GridwiseGemm_xdl_cshuffle_v3INS_13tensor_layout4gemm8RowMajorENS3_11ColumnMajorES4_DF16bNS_7pk_i4_tEfDF16bDF16bNS_16tensor_operation12element_wise11PassThroughES9_S9_LNS7_6device18GemmSpecializationE0ELi128ELi16ELi64ELi128ELi8ELi32ELi16ELi16ELi1ELi1ENS_8SequenceIJLi16ELi8ELi1EEEENSC_IJLi1ELi0ELi2EEEESE_Li2ELi8ELi8ELb0ELi0ENSC_IJLi4ELi32ELi1EEEESE_SE_Li2ELi32ELi32ELb0ELi0ELi1ELi1ENSC_IJLi1ELi16ELi1ELi8EEEELi4ELNS_26BlockGemmPipelineSchedulerE1ELNS_24BlockGemmPipelineVersionE1EDF16bDF16bLb0ELb1ELb0ELi0ELb0EEELb1ELNS_25InMemoryDataOperationEnumE0ELi2ELNS_10TailNumberE3EEEvNT_8ArgumentE,comdat
.Lfunc_end10:
	.size	_ZN2ck27kernel_gemm_xdl_cshuffle_v3INS_28GridwiseGemm_xdl_cshuffle_v3INS_13tensor_layout4gemm8RowMajorENS3_11ColumnMajorES4_DF16bNS_7pk_i4_tEfDF16bDF16bNS_16tensor_operation12element_wise11PassThroughES9_S9_LNS7_6device18GemmSpecializationE0ELi128ELi16ELi64ELi128ELi8ELi32ELi16ELi16ELi1ELi1ENS_8SequenceIJLi16ELi8ELi1EEEENSC_IJLi1ELi0ELi2EEEESE_Li2ELi8ELi8ELb0ELi0ENSC_IJLi4ELi32ELi1EEEESE_SE_Li2ELi32ELi32ELb0ELi0ELi1ELi1ENSC_IJLi1ELi16ELi1ELi8EEEELi4ELNS_26BlockGemmPipelineSchedulerE1ELNS_24BlockGemmPipelineVersionE1EDF16bDF16bLb0ELb1ELb0ELi0ELb0EEELb1ELNS_25InMemoryDataOperationEnumE0ELi2ELNS_10TailNumberE3EEEvNT_8ArgumentE, .Lfunc_end10-_ZN2ck27kernel_gemm_xdl_cshuffle_v3INS_28GridwiseGemm_xdl_cshuffle_v3INS_13tensor_layout4gemm8RowMajorENS3_11ColumnMajorES4_DF16bNS_7pk_i4_tEfDF16bDF16bNS_16tensor_operation12element_wise11PassThroughES9_S9_LNS7_6device18GemmSpecializationE0ELi128ELi16ELi64ELi128ELi8ELi32ELi16ELi16ELi1ELi1ENS_8SequenceIJLi16ELi8ELi1EEEENSC_IJLi1ELi0ELi2EEEESE_Li2ELi8ELi8ELb0ELi0ENSC_IJLi4ELi32ELi1EEEESE_SE_Li2ELi32ELi32ELb0ELi0ELi1ELi1ENSC_IJLi1ELi16ELi1ELi8EEEELi4ELNS_26BlockGemmPipelineSchedulerE1ELNS_24BlockGemmPipelineVersionE1EDF16bDF16bLb0ELb1ELb0ELi0ELb0EEELb1ELNS_25InMemoryDataOperationEnumE0ELi2ELNS_10TailNumberE3EEEvNT_8ArgumentE
                                        ; -- End function
	.set _ZN2ck27kernel_gemm_xdl_cshuffle_v3INS_28GridwiseGemm_xdl_cshuffle_v3INS_13tensor_layout4gemm8RowMajorENS3_11ColumnMajorES4_DF16bNS_7pk_i4_tEfDF16bDF16bNS_16tensor_operation12element_wise11PassThroughES9_S9_LNS7_6device18GemmSpecializationE0ELi128ELi16ELi64ELi128ELi8ELi32ELi16ELi16ELi1ELi1ENS_8SequenceIJLi16ELi8ELi1EEEENSC_IJLi1ELi0ELi2EEEESE_Li2ELi8ELi8ELb0ELi0ENSC_IJLi4ELi32ELi1EEEESE_SE_Li2ELi32ELi32ELb0ELi0ELi1ELi1ENSC_IJLi1ELi16ELi1ELi8EEEELi4ELNS_26BlockGemmPipelineSchedulerE1ELNS_24BlockGemmPipelineVersionE1EDF16bDF16bLb0ELb1ELb0ELi0ELb0EEELb1ELNS_25InMemoryDataOperationEnumE0ELi2ELNS_10TailNumberE3EEEvNT_8ArgumentE.num_vgpr, 148
	.set _ZN2ck27kernel_gemm_xdl_cshuffle_v3INS_28GridwiseGemm_xdl_cshuffle_v3INS_13tensor_layout4gemm8RowMajorENS3_11ColumnMajorES4_DF16bNS_7pk_i4_tEfDF16bDF16bNS_16tensor_operation12element_wise11PassThroughES9_S9_LNS7_6device18GemmSpecializationE0ELi128ELi16ELi64ELi128ELi8ELi32ELi16ELi16ELi1ELi1ENS_8SequenceIJLi16ELi8ELi1EEEENSC_IJLi1ELi0ELi2EEEESE_Li2ELi8ELi8ELb0ELi0ENSC_IJLi4ELi32ELi1EEEESE_SE_Li2ELi32ELi32ELb0ELi0ELi1ELi1ENSC_IJLi1ELi16ELi1ELi8EEEELi4ELNS_26BlockGemmPipelineSchedulerE1ELNS_24BlockGemmPipelineVersionE1EDF16bDF16bLb0ELb1ELb0ELi0ELb0EEELb1ELNS_25InMemoryDataOperationEnumE0ELi2ELNS_10TailNumberE3EEEvNT_8ArgumentE.num_agpr, 0
	.set _ZN2ck27kernel_gemm_xdl_cshuffle_v3INS_28GridwiseGemm_xdl_cshuffle_v3INS_13tensor_layout4gemm8RowMajorENS3_11ColumnMajorES4_DF16bNS_7pk_i4_tEfDF16bDF16bNS_16tensor_operation12element_wise11PassThroughES9_S9_LNS7_6device18GemmSpecializationE0ELi128ELi16ELi64ELi128ELi8ELi32ELi16ELi16ELi1ELi1ENS_8SequenceIJLi16ELi8ELi1EEEENSC_IJLi1ELi0ELi2EEEESE_Li2ELi8ELi8ELb0ELi0ENSC_IJLi4ELi32ELi1EEEESE_SE_Li2ELi32ELi32ELb0ELi0ELi1ELi1ENSC_IJLi1ELi16ELi1ELi8EEEELi4ELNS_26BlockGemmPipelineSchedulerE1ELNS_24BlockGemmPipelineVersionE1EDF16bDF16bLb0ELb1ELb0ELi0ELb0EEELb1ELNS_25InMemoryDataOperationEnumE0ELi2ELNS_10TailNumberE3EEEvNT_8ArgumentE.numbered_sgpr, 30
	.set _ZN2ck27kernel_gemm_xdl_cshuffle_v3INS_28GridwiseGemm_xdl_cshuffle_v3INS_13tensor_layout4gemm8RowMajorENS3_11ColumnMajorES4_DF16bNS_7pk_i4_tEfDF16bDF16bNS_16tensor_operation12element_wise11PassThroughES9_S9_LNS7_6device18GemmSpecializationE0ELi128ELi16ELi64ELi128ELi8ELi32ELi16ELi16ELi1ELi1ENS_8SequenceIJLi16ELi8ELi1EEEENSC_IJLi1ELi0ELi2EEEESE_Li2ELi8ELi8ELb0ELi0ENSC_IJLi4ELi32ELi1EEEESE_SE_Li2ELi32ELi32ELb0ELi0ELi1ELi1ENSC_IJLi1ELi16ELi1ELi8EEEELi4ELNS_26BlockGemmPipelineSchedulerE1ELNS_24BlockGemmPipelineVersionE1EDF16bDF16bLb0ELb1ELb0ELi0ELb0EEELb1ELNS_25InMemoryDataOperationEnumE0ELi2ELNS_10TailNumberE3EEEvNT_8ArgumentE.num_named_barrier, 0
	.set _ZN2ck27kernel_gemm_xdl_cshuffle_v3INS_28GridwiseGemm_xdl_cshuffle_v3INS_13tensor_layout4gemm8RowMajorENS3_11ColumnMajorES4_DF16bNS_7pk_i4_tEfDF16bDF16bNS_16tensor_operation12element_wise11PassThroughES9_S9_LNS7_6device18GemmSpecializationE0ELi128ELi16ELi64ELi128ELi8ELi32ELi16ELi16ELi1ELi1ENS_8SequenceIJLi16ELi8ELi1EEEENSC_IJLi1ELi0ELi2EEEESE_Li2ELi8ELi8ELb0ELi0ENSC_IJLi4ELi32ELi1EEEESE_SE_Li2ELi32ELi32ELb0ELi0ELi1ELi1ENSC_IJLi1ELi16ELi1ELi8EEEELi4ELNS_26BlockGemmPipelineSchedulerE1ELNS_24BlockGemmPipelineVersionE1EDF16bDF16bLb0ELb1ELb0ELi0ELb0EEELb1ELNS_25InMemoryDataOperationEnumE0ELi2ELNS_10TailNumberE3EEEvNT_8ArgumentE.private_seg_size, 0
	.set _ZN2ck27kernel_gemm_xdl_cshuffle_v3INS_28GridwiseGemm_xdl_cshuffle_v3INS_13tensor_layout4gemm8RowMajorENS3_11ColumnMajorES4_DF16bNS_7pk_i4_tEfDF16bDF16bNS_16tensor_operation12element_wise11PassThroughES9_S9_LNS7_6device18GemmSpecializationE0ELi128ELi16ELi64ELi128ELi8ELi32ELi16ELi16ELi1ELi1ENS_8SequenceIJLi16ELi8ELi1EEEENSC_IJLi1ELi0ELi2EEEESE_Li2ELi8ELi8ELb0ELi0ENSC_IJLi4ELi32ELi1EEEESE_SE_Li2ELi32ELi32ELb0ELi0ELi1ELi1ENSC_IJLi1ELi16ELi1ELi8EEEELi4ELNS_26BlockGemmPipelineSchedulerE1ELNS_24BlockGemmPipelineVersionE1EDF16bDF16bLb0ELb1ELb0ELi0ELb0EEELb1ELNS_25InMemoryDataOperationEnumE0ELi2ELNS_10TailNumberE3EEEvNT_8ArgumentE.uses_vcc, 1
	.set _ZN2ck27kernel_gemm_xdl_cshuffle_v3INS_28GridwiseGemm_xdl_cshuffle_v3INS_13tensor_layout4gemm8RowMajorENS3_11ColumnMajorES4_DF16bNS_7pk_i4_tEfDF16bDF16bNS_16tensor_operation12element_wise11PassThroughES9_S9_LNS7_6device18GemmSpecializationE0ELi128ELi16ELi64ELi128ELi8ELi32ELi16ELi16ELi1ELi1ENS_8SequenceIJLi16ELi8ELi1EEEENSC_IJLi1ELi0ELi2EEEESE_Li2ELi8ELi8ELb0ELi0ENSC_IJLi4ELi32ELi1EEEESE_SE_Li2ELi32ELi32ELb0ELi0ELi1ELi1ENSC_IJLi1ELi16ELi1ELi8EEEELi4ELNS_26BlockGemmPipelineSchedulerE1ELNS_24BlockGemmPipelineVersionE1EDF16bDF16bLb0ELb1ELb0ELi0ELb0EEELb1ELNS_25InMemoryDataOperationEnumE0ELi2ELNS_10TailNumberE3EEEvNT_8ArgumentE.uses_flat_scratch, 0
	.set _ZN2ck27kernel_gemm_xdl_cshuffle_v3INS_28GridwiseGemm_xdl_cshuffle_v3INS_13tensor_layout4gemm8RowMajorENS3_11ColumnMajorES4_DF16bNS_7pk_i4_tEfDF16bDF16bNS_16tensor_operation12element_wise11PassThroughES9_S9_LNS7_6device18GemmSpecializationE0ELi128ELi16ELi64ELi128ELi8ELi32ELi16ELi16ELi1ELi1ENS_8SequenceIJLi16ELi8ELi1EEEENSC_IJLi1ELi0ELi2EEEESE_Li2ELi8ELi8ELb0ELi0ENSC_IJLi4ELi32ELi1EEEESE_SE_Li2ELi32ELi32ELb0ELi0ELi1ELi1ENSC_IJLi1ELi16ELi1ELi8EEEELi4ELNS_26BlockGemmPipelineSchedulerE1ELNS_24BlockGemmPipelineVersionE1EDF16bDF16bLb0ELb1ELb0ELi0ELb0EEELb1ELNS_25InMemoryDataOperationEnumE0ELi2ELNS_10TailNumberE3EEEvNT_8ArgumentE.has_dyn_sized_stack, 0
	.set _ZN2ck27kernel_gemm_xdl_cshuffle_v3INS_28GridwiseGemm_xdl_cshuffle_v3INS_13tensor_layout4gemm8RowMajorENS3_11ColumnMajorES4_DF16bNS_7pk_i4_tEfDF16bDF16bNS_16tensor_operation12element_wise11PassThroughES9_S9_LNS7_6device18GemmSpecializationE0ELi128ELi16ELi64ELi128ELi8ELi32ELi16ELi16ELi1ELi1ENS_8SequenceIJLi16ELi8ELi1EEEENSC_IJLi1ELi0ELi2EEEESE_Li2ELi8ELi8ELb0ELi0ENSC_IJLi4ELi32ELi1EEEESE_SE_Li2ELi32ELi32ELb0ELi0ELi1ELi1ENSC_IJLi1ELi16ELi1ELi8EEEELi4ELNS_26BlockGemmPipelineSchedulerE1ELNS_24BlockGemmPipelineVersionE1EDF16bDF16bLb0ELb1ELb0ELi0ELb0EEELb1ELNS_25InMemoryDataOperationEnumE0ELi2ELNS_10TailNumberE3EEEvNT_8ArgumentE.has_recursion, 0
	.set _ZN2ck27kernel_gemm_xdl_cshuffle_v3INS_28GridwiseGemm_xdl_cshuffle_v3INS_13tensor_layout4gemm8RowMajorENS3_11ColumnMajorES4_DF16bNS_7pk_i4_tEfDF16bDF16bNS_16tensor_operation12element_wise11PassThroughES9_S9_LNS7_6device18GemmSpecializationE0ELi128ELi16ELi64ELi128ELi8ELi32ELi16ELi16ELi1ELi1ENS_8SequenceIJLi16ELi8ELi1EEEENSC_IJLi1ELi0ELi2EEEESE_Li2ELi8ELi8ELb0ELi0ENSC_IJLi4ELi32ELi1EEEESE_SE_Li2ELi32ELi32ELb0ELi0ELi1ELi1ENSC_IJLi1ELi16ELi1ELi8EEEELi4ELNS_26BlockGemmPipelineSchedulerE1ELNS_24BlockGemmPipelineVersionE1EDF16bDF16bLb0ELb1ELb0ELi0ELb0EEELb1ELNS_25InMemoryDataOperationEnumE0ELi2ELNS_10TailNumberE3EEEvNT_8ArgumentE.has_indirect_call, 0
	.section	.AMDGPU.csdata,"",@progbits
; Kernel info:
; codeLenInByte = 14736
; TotalNumSgprs: 32
; NumVgprs: 148
; ScratchSize: 0
; MemoryBound: 0
; FloatMode: 240
; IeeeMode: 1
; LDSByteSize: 8192 bytes/workgroup (compile time only)
; SGPRBlocks: 0
; VGPRBlocks: 18
; NumSGPRsForWavesPerEU: 32
; NumVGPRsForWavesPerEU: 148
; Occupancy: 9
; WaveLimiterHint : 0
; COMPUTE_PGM_RSRC2:SCRATCH_EN: 0
; COMPUTE_PGM_RSRC2:USER_SGPR: 2
; COMPUTE_PGM_RSRC2:TRAP_HANDLER: 0
; COMPUTE_PGM_RSRC2:TGID_X_EN: 1
; COMPUTE_PGM_RSRC2:TGID_Y_EN: 0
; COMPUTE_PGM_RSRC2:TGID_Z_EN: 1
; COMPUTE_PGM_RSRC2:TIDIG_COMP_CNT: 0
	.section	.AMDGPU.gpr_maximums,"",@progbits
	.set amdgpu.max_num_vgpr, 0
	.set amdgpu.max_num_agpr, 0
	.set amdgpu.max_num_sgpr, 0
	.section	.AMDGPU.csdata,"",@progbits
	.type	__hip_cuid_d5fe990c761bfbea,@object ; @__hip_cuid_d5fe990c761bfbea
	.section	.bss,"aw",@nobits
	.globl	__hip_cuid_d5fe990c761bfbea
__hip_cuid_d5fe990c761bfbea:
	.byte	0                               ; 0x0
	.size	__hip_cuid_d5fe990c761bfbea, 1

	.ident	"AMD clang version 22.0.0git (https://github.com/RadeonOpenCompute/llvm-project roc-7.2.4 26084 f58b06dce1f9c15707c5f808fd002e18c2accf7e)"
	.section	".note.GNU-stack","",@progbits
	.addrsig
	.addrsig_sym __hip_cuid_d5fe990c761bfbea
	.amdgpu_metadata
---
amdhsa.kernels:
  - .args:           []
    .group_segment_fixed_size: 0
    .kernarg_segment_align: 4
    .kernarg_segment_size: 0
    .language:       OpenCL C
    .language_version:
      - 2
      - 0
    .max_flat_workgroup_size: 1024
    .name:           _ZN2ckL12flush_icacheEv
    .private_segment_fixed_size: 0
    .sgpr_count:     0
    .sgpr_spill_count: 0
    .symbol:         _ZN2ckL12flush_icacheEv.kd
    .uniform_work_group_size: 1
    .uses_dynamic_stack: false
    .vgpr_count:     0
    .vgpr_spill_count: 0
    .wavefront_size: 32
    .workgroup_processor_mode: 1
  - .args:
      - .offset:         0
        .size:           112
        .value_kind:     by_value
    .group_segment_fixed_size: 0
    .kernarg_segment_align: 8
    .kernarg_segment_size: 112
    .language:       OpenCL C
    .language_version:
      - 2
      - 0
    .max_flat_workgroup_size: 128
    .name:           _ZN2ck27kernel_gemm_xdl_cshuffle_v3INS_28GridwiseGemm_xdl_cshuffle_v3INS_13tensor_layout4gemm8RowMajorENS3_11ColumnMajorES4_DF16bNS_7pk_i4_tEfDF16bDF16bNS_16tensor_operation12element_wise11PassThroughES9_S9_LNS7_6device18GemmSpecializationE0ELi128ELi16ELi64ELi128ELi8ELi32ELi16ELi16ELi1ELi2ENS_8SequenceIJLi16ELi8ELi1EEEENSC_IJLi1ELi0ELi2EEEESE_Li2ELi8ELi8ELb0ELi0ENSC_IJLi4ELi32ELi1EEEESE_SE_Li2ELi32ELi32ELb0ELi0ELi1ELi1ENSC_IJLi1ELi16ELi1ELi8EEEELi4ELNS_26BlockGemmPipelineSchedulerE1ELNS_24BlockGemmPipelineVersionE1EDF16bDF16bLb0ELb1ELb0ELi0ELb0EEELb1ELNS_25InMemoryDataOperationEnumE1ELi2ELNS_10TailNumberE2EEEvNT_8ArgumentE
    .private_segment_fixed_size: 0
    .sgpr_count:     0
    .sgpr_spill_count: 0
    .symbol:         _ZN2ck27kernel_gemm_xdl_cshuffle_v3INS_28GridwiseGemm_xdl_cshuffle_v3INS_13tensor_layout4gemm8RowMajorENS3_11ColumnMajorES4_DF16bNS_7pk_i4_tEfDF16bDF16bNS_16tensor_operation12element_wise11PassThroughES9_S9_LNS7_6device18GemmSpecializationE0ELi128ELi16ELi64ELi128ELi8ELi32ELi16ELi16ELi1ELi2ENS_8SequenceIJLi16ELi8ELi1EEEENSC_IJLi1ELi0ELi2EEEESE_Li2ELi8ELi8ELb0ELi0ENSC_IJLi4ELi32ELi1EEEESE_SE_Li2ELi32ELi32ELb0ELi0ELi1ELi1ENSC_IJLi1ELi16ELi1ELi8EEEELi4ELNS_26BlockGemmPipelineSchedulerE1ELNS_24BlockGemmPipelineVersionE1EDF16bDF16bLb0ELb1ELb0ELi0ELb0EEELb1ELNS_25InMemoryDataOperationEnumE1ELi2ELNS_10TailNumberE2EEEvNT_8ArgumentE.kd
    .uniform_work_group_size: 1
    .uses_dynamic_stack: false
    .vgpr_count:     0
    .vgpr_spill_count: 0
    .wavefront_size: 32
    .workgroup_processor_mode: 1
  - .args:
      - .offset:         0
        .size:           112
        .value_kind:     by_value
    .group_segment_fixed_size: 0
    .kernarg_segment_align: 8
    .kernarg_segment_size: 112
    .language:       OpenCL C
    .language_version:
      - 2
      - 0
    .max_flat_workgroup_size: 128
    .name:           _ZN2ck27kernel_gemm_xdl_cshuffle_v3INS_28GridwiseGemm_xdl_cshuffle_v3INS_13tensor_layout4gemm8RowMajorENS3_11ColumnMajorES4_DF16bNS_7pk_i4_tEfDF16bDF16bNS_16tensor_operation12element_wise11PassThroughES9_S9_LNS7_6device18GemmSpecializationE0ELi128ELi16ELi64ELi128ELi8ELi32ELi16ELi16ELi1ELi2ENS_8SequenceIJLi16ELi8ELi1EEEENSC_IJLi1ELi0ELi2EEEESE_Li2ELi8ELi8ELb0ELi0ENSC_IJLi4ELi32ELi1EEEESE_SE_Li2ELi32ELi32ELb0ELi0ELi1ELi1ENSC_IJLi1ELi16ELi1ELi8EEEELi4ELNS_26BlockGemmPipelineSchedulerE1ELNS_24BlockGemmPipelineVersionE1EDF16bDF16bLb0ELb1ELb0ELi0ELb0EEELb1ELNS_25InMemoryDataOperationEnumE1ELi2ELNS_10TailNumberE10EEEvNT_8ArgumentE
    .private_segment_fixed_size: 0
    .sgpr_count:     0
    .sgpr_spill_count: 0
    .symbol:         _ZN2ck27kernel_gemm_xdl_cshuffle_v3INS_28GridwiseGemm_xdl_cshuffle_v3INS_13tensor_layout4gemm8RowMajorENS3_11ColumnMajorES4_DF16bNS_7pk_i4_tEfDF16bDF16bNS_16tensor_operation12element_wise11PassThroughES9_S9_LNS7_6device18GemmSpecializationE0ELi128ELi16ELi64ELi128ELi8ELi32ELi16ELi16ELi1ELi2ENS_8SequenceIJLi16ELi8ELi1EEEENSC_IJLi1ELi0ELi2EEEESE_Li2ELi8ELi8ELb0ELi0ENSC_IJLi4ELi32ELi1EEEESE_SE_Li2ELi32ELi32ELb0ELi0ELi1ELi1ENSC_IJLi1ELi16ELi1ELi8EEEELi4ELNS_26BlockGemmPipelineSchedulerE1ELNS_24BlockGemmPipelineVersionE1EDF16bDF16bLb0ELb1ELb0ELi0ELb0EEELb1ELNS_25InMemoryDataOperationEnumE1ELi2ELNS_10TailNumberE10EEEvNT_8ArgumentE.kd
    .uniform_work_group_size: 1
    .uses_dynamic_stack: false
    .vgpr_count:     0
    .vgpr_spill_count: 0
    .wavefront_size: 32
    .workgroup_processor_mode: 1
  - .args:
      - .offset:         0
        .size:           112
        .value_kind:     by_value
    .group_segment_fixed_size: 0
    .kernarg_segment_align: 8
    .kernarg_segment_size: 112
    .language:       OpenCL C
    .language_version:
      - 2
      - 0
    .max_flat_workgroup_size: 128
    .name:           _ZN2ck27kernel_gemm_xdl_cshuffle_v3INS_28GridwiseGemm_xdl_cshuffle_v3INS_13tensor_layout4gemm8RowMajorENS3_11ColumnMajorES4_DF16bNS_7pk_i4_tEfDF16bDF16bNS_16tensor_operation12element_wise11PassThroughES9_S9_LNS7_6device18GemmSpecializationE0ELi128ELi16ELi64ELi128ELi8ELi32ELi16ELi16ELi1ELi2ENS_8SequenceIJLi16ELi8ELi1EEEENSC_IJLi1ELi0ELi2EEEESE_Li2ELi8ELi8ELb0ELi0ENSC_IJLi4ELi32ELi1EEEESE_SE_Li2ELi32ELi32ELb0ELi0ELi1ELi1ENSC_IJLi1ELi16ELi1ELi8EEEELi4ELNS_26BlockGemmPipelineSchedulerE1ELNS_24BlockGemmPipelineVersionE1EDF16bDF16bLb0ELb1ELb0ELi0ELb0EEELb1ELNS_25InMemoryDataOperationEnumE0ELi2ELNS_10TailNumberE2EEEvNT_8ArgumentE
    .private_segment_fixed_size: 0
    .sgpr_count:     0
    .sgpr_spill_count: 0
    .symbol:         _ZN2ck27kernel_gemm_xdl_cshuffle_v3INS_28GridwiseGemm_xdl_cshuffle_v3INS_13tensor_layout4gemm8RowMajorENS3_11ColumnMajorES4_DF16bNS_7pk_i4_tEfDF16bDF16bNS_16tensor_operation12element_wise11PassThroughES9_S9_LNS7_6device18GemmSpecializationE0ELi128ELi16ELi64ELi128ELi8ELi32ELi16ELi16ELi1ELi2ENS_8SequenceIJLi16ELi8ELi1EEEENSC_IJLi1ELi0ELi2EEEESE_Li2ELi8ELi8ELb0ELi0ENSC_IJLi4ELi32ELi1EEEESE_SE_Li2ELi32ELi32ELb0ELi0ELi1ELi1ENSC_IJLi1ELi16ELi1ELi8EEEELi4ELNS_26BlockGemmPipelineSchedulerE1ELNS_24BlockGemmPipelineVersionE1EDF16bDF16bLb0ELb1ELb0ELi0ELb0EEELb1ELNS_25InMemoryDataOperationEnumE0ELi2ELNS_10TailNumberE2EEEvNT_8ArgumentE.kd
    .uniform_work_group_size: 1
    .uses_dynamic_stack: false
    .vgpr_count:     0
    .vgpr_spill_count: 0
    .wavefront_size: 32
    .workgroup_processor_mode: 1
  - .args:
      - .offset:         0
        .size:           112
        .value_kind:     by_value
    .group_segment_fixed_size: 0
    .kernarg_segment_align: 8
    .kernarg_segment_size: 112
    .language:       OpenCL C
    .language_version:
      - 2
      - 0
    .max_flat_workgroup_size: 128
    .name:           _ZN2ck27kernel_gemm_xdl_cshuffle_v3INS_28GridwiseGemm_xdl_cshuffle_v3INS_13tensor_layout4gemm8RowMajorENS3_11ColumnMajorES4_DF16bNS_7pk_i4_tEfDF16bDF16bNS_16tensor_operation12element_wise11PassThroughES9_S9_LNS7_6device18GemmSpecializationE0ELi128ELi16ELi64ELi128ELi8ELi32ELi16ELi16ELi1ELi2ENS_8SequenceIJLi16ELi8ELi1EEEENSC_IJLi1ELi0ELi2EEEESE_Li2ELi8ELi8ELb0ELi0ENSC_IJLi4ELi32ELi1EEEESE_SE_Li2ELi32ELi32ELb0ELi0ELi1ELi1ENSC_IJLi1ELi16ELi1ELi8EEEELi4ELNS_26BlockGemmPipelineSchedulerE1ELNS_24BlockGemmPipelineVersionE1EDF16bDF16bLb0ELb1ELb0ELi0ELb0EEELb1ELNS_25InMemoryDataOperationEnumE0ELi2ELNS_10TailNumberE10EEEvNT_8ArgumentE
    .private_segment_fixed_size: 0
    .sgpr_count:     0
    .sgpr_spill_count: 0
    .symbol:         _ZN2ck27kernel_gemm_xdl_cshuffle_v3INS_28GridwiseGemm_xdl_cshuffle_v3INS_13tensor_layout4gemm8RowMajorENS3_11ColumnMajorES4_DF16bNS_7pk_i4_tEfDF16bDF16bNS_16tensor_operation12element_wise11PassThroughES9_S9_LNS7_6device18GemmSpecializationE0ELi128ELi16ELi64ELi128ELi8ELi32ELi16ELi16ELi1ELi2ENS_8SequenceIJLi16ELi8ELi1EEEENSC_IJLi1ELi0ELi2EEEESE_Li2ELi8ELi8ELb0ELi0ENSC_IJLi4ELi32ELi1EEEESE_SE_Li2ELi32ELi32ELb0ELi0ELi1ELi1ENSC_IJLi1ELi16ELi1ELi8EEEELi4ELNS_26BlockGemmPipelineSchedulerE1ELNS_24BlockGemmPipelineVersionE1EDF16bDF16bLb0ELb1ELb0ELi0ELb0EEELb1ELNS_25InMemoryDataOperationEnumE0ELi2ELNS_10TailNumberE10EEEvNT_8ArgumentE.kd
    .uniform_work_group_size: 1
    .uses_dynamic_stack: false
    .vgpr_count:     0
    .vgpr_spill_count: 0
    .wavefront_size: 32
    .workgroup_processor_mode: 1
  - .args:
      - .offset:         0
        .size:           112
        .value_kind:     by_value
    .group_segment_fixed_size: 8192
    .kernarg_segment_align: 8
    .kernarg_segment_size: 112
    .language:       OpenCL C
    .language_version:
      - 2
      - 0
    .max_flat_workgroup_size: 128
    .name:           _ZN2ck27kernel_gemm_xdl_cshuffle_v3INS_28GridwiseGemm_xdl_cshuffle_v3INS_13tensor_layout4gemm8RowMajorENS3_11ColumnMajorES4_DF16bNS_7pk_i4_tEfDF16bDF16bNS_16tensor_operation12element_wise11PassThroughES9_S9_LNS7_6device18GemmSpecializationE0ELi128ELi16ELi64ELi128ELi8ELi32ELi16ELi16ELi1ELi1ENS_8SequenceIJLi16ELi8ELi1EEEENSC_IJLi1ELi0ELi2EEEESE_Li2ELi8ELi8ELb0ELi0ENSC_IJLi4ELi32ELi1EEEESE_SE_Li2ELi32ELi32ELb0ELi0ELi1ELi1ENSC_IJLi1ELi16ELi1ELi8EEEELi4ELNS_26BlockGemmPipelineSchedulerE1ELNS_24BlockGemmPipelineVersionE1EDF16bDF16bLb0ELb1ELb0ELi0ELb0EEELb1ELNS_25InMemoryDataOperationEnumE1ELi2ELNS_10TailNumberE2EEEvNT_8ArgumentE
    .private_segment_fixed_size: 0
    .sgpr_count:     31
    .sgpr_spill_count: 0
    .symbol:         _ZN2ck27kernel_gemm_xdl_cshuffle_v3INS_28GridwiseGemm_xdl_cshuffle_v3INS_13tensor_layout4gemm8RowMajorENS3_11ColumnMajorES4_DF16bNS_7pk_i4_tEfDF16bDF16bNS_16tensor_operation12element_wise11PassThroughES9_S9_LNS7_6device18GemmSpecializationE0ELi128ELi16ELi64ELi128ELi8ELi32ELi16ELi16ELi1ELi1ENS_8SequenceIJLi16ELi8ELi1EEEENSC_IJLi1ELi0ELi2EEEESE_Li2ELi8ELi8ELb0ELi0ENSC_IJLi4ELi32ELi1EEEESE_SE_Li2ELi32ELi32ELb0ELi0ELi1ELi1ENSC_IJLi1ELi16ELi1ELi8EEEELi4ELNS_26BlockGemmPipelineSchedulerE1ELNS_24BlockGemmPipelineVersionE1EDF16bDF16bLb0ELb1ELb0ELi0ELb0EEELb1ELNS_25InMemoryDataOperationEnumE1ELi2ELNS_10TailNumberE2EEEvNT_8ArgumentE.kd
    .uniform_work_group_size: 1
    .uses_dynamic_stack: false
    .vgpr_count:     143
    .vgpr_spill_count: 0
    .wavefront_size: 32
    .workgroup_processor_mode: 1
  - .args:
      - .offset:         0
        .size:           112
        .value_kind:     by_value
    .group_segment_fixed_size: 8192
    .kernarg_segment_align: 8
    .kernarg_segment_size: 112
    .language:       OpenCL C
    .language_version:
      - 2
      - 0
    .max_flat_workgroup_size: 128
    .name:           _ZN2ck27kernel_gemm_xdl_cshuffle_v3INS_28GridwiseGemm_xdl_cshuffle_v3INS_13tensor_layout4gemm8RowMajorENS3_11ColumnMajorES4_DF16bNS_7pk_i4_tEfDF16bDF16bNS_16tensor_operation12element_wise11PassThroughES9_S9_LNS7_6device18GemmSpecializationE0ELi128ELi16ELi64ELi128ELi8ELi32ELi16ELi16ELi1ELi1ENS_8SequenceIJLi16ELi8ELi1EEEENSC_IJLi1ELi0ELi2EEEESE_Li2ELi8ELi8ELb0ELi0ENSC_IJLi4ELi32ELi1EEEESE_SE_Li2ELi32ELi32ELb0ELi0ELi1ELi1ENSC_IJLi1ELi16ELi1ELi8EEEELi4ELNS_26BlockGemmPipelineSchedulerE1ELNS_24BlockGemmPipelineVersionE1EDF16bDF16bLb0ELb1ELb0ELi0ELb0EEELb1ELNS_25InMemoryDataOperationEnumE1ELi2ELNS_10TailNumberE10EEEvNT_8ArgumentE
    .private_segment_fixed_size: 0
    .sgpr_count:     31
    .sgpr_spill_count: 0
    .symbol:         _ZN2ck27kernel_gemm_xdl_cshuffle_v3INS_28GridwiseGemm_xdl_cshuffle_v3INS_13tensor_layout4gemm8RowMajorENS3_11ColumnMajorES4_DF16bNS_7pk_i4_tEfDF16bDF16bNS_16tensor_operation12element_wise11PassThroughES9_S9_LNS7_6device18GemmSpecializationE0ELi128ELi16ELi64ELi128ELi8ELi32ELi16ELi16ELi1ELi1ENS_8SequenceIJLi16ELi8ELi1EEEENSC_IJLi1ELi0ELi2EEEESE_Li2ELi8ELi8ELb0ELi0ENSC_IJLi4ELi32ELi1EEEESE_SE_Li2ELi32ELi32ELb0ELi0ELi1ELi1ENSC_IJLi1ELi16ELi1ELi8EEEELi4ELNS_26BlockGemmPipelineSchedulerE1ELNS_24BlockGemmPipelineVersionE1EDF16bDF16bLb0ELb1ELb0ELi0ELb0EEELb1ELNS_25InMemoryDataOperationEnumE1ELi2ELNS_10TailNumberE10EEEvNT_8ArgumentE.kd
    .uniform_work_group_size: 1
    .uses_dynamic_stack: false
    .vgpr_count:     149
    .vgpr_spill_count: 0
    .wavefront_size: 32
    .workgroup_processor_mode: 1
  - .args:
      - .offset:         0
        .size:           112
        .value_kind:     by_value
    .group_segment_fixed_size: 8192
    .kernarg_segment_align: 8
    .kernarg_segment_size: 112
    .language:       OpenCL C
    .language_version:
      - 2
      - 0
    .max_flat_workgroup_size: 128
    .name:           _ZN2ck27kernel_gemm_xdl_cshuffle_v3INS_28GridwiseGemm_xdl_cshuffle_v3INS_13tensor_layout4gemm8RowMajorENS3_11ColumnMajorES4_DF16bNS_7pk_i4_tEfDF16bDF16bNS_16tensor_operation12element_wise11PassThroughES9_S9_LNS7_6device18GemmSpecializationE0ELi128ELi16ELi64ELi128ELi8ELi32ELi16ELi16ELi1ELi1ENS_8SequenceIJLi16ELi8ELi1EEEENSC_IJLi1ELi0ELi2EEEESE_Li2ELi8ELi8ELb0ELi0ENSC_IJLi4ELi32ELi1EEEESE_SE_Li2ELi32ELi32ELb0ELi0ELi1ELi1ENSC_IJLi1ELi16ELi1ELi8EEEELi4ELNS_26BlockGemmPipelineSchedulerE1ELNS_24BlockGemmPipelineVersionE1EDF16bDF16bLb0ELb1ELb0ELi0ELb0EEELb1ELNS_25InMemoryDataOperationEnumE1ELi2ELNS_10TailNumberE3EEEvNT_8ArgumentE
    .private_segment_fixed_size: 0
    .sgpr_count:     31
    .sgpr_spill_count: 0
    .symbol:         _ZN2ck27kernel_gemm_xdl_cshuffle_v3INS_28GridwiseGemm_xdl_cshuffle_v3INS_13tensor_layout4gemm8RowMajorENS3_11ColumnMajorES4_DF16bNS_7pk_i4_tEfDF16bDF16bNS_16tensor_operation12element_wise11PassThroughES9_S9_LNS7_6device18GemmSpecializationE0ELi128ELi16ELi64ELi128ELi8ELi32ELi16ELi16ELi1ELi1ENS_8SequenceIJLi16ELi8ELi1EEEENSC_IJLi1ELi0ELi2EEEESE_Li2ELi8ELi8ELb0ELi0ENSC_IJLi4ELi32ELi1EEEESE_SE_Li2ELi32ELi32ELb0ELi0ELi1ELi1ENSC_IJLi1ELi16ELi1ELi8EEEELi4ELNS_26BlockGemmPipelineSchedulerE1ELNS_24BlockGemmPipelineVersionE1EDF16bDF16bLb0ELb1ELb0ELi0ELb0EEELb1ELNS_25InMemoryDataOperationEnumE1ELi2ELNS_10TailNumberE3EEEvNT_8ArgumentE.kd
    .uniform_work_group_size: 1
    .uses_dynamic_stack: false
    .vgpr_count:     148
    .vgpr_spill_count: 0
    .wavefront_size: 32
    .workgroup_processor_mode: 1
  - .args:
      - .offset:         0
        .size:           112
        .value_kind:     by_value
    .group_segment_fixed_size: 8192
    .kernarg_segment_align: 8
    .kernarg_segment_size: 112
    .language:       OpenCL C
    .language_version:
      - 2
      - 0
    .max_flat_workgroup_size: 128
    .name:           _ZN2ck27kernel_gemm_xdl_cshuffle_v3INS_28GridwiseGemm_xdl_cshuffle_v3INS_13tensor_layout4gemm8RowMajorENS3_11ColumnMajorES4_DF16bNS_7pk_i4_tEfDF16bDF16bNS_16tensor_operation12element_wise11PassThroughES9_S9_LNS7_6device18GemmSpecializationE0ELi128ELi16ELi64ELi128ELi8ELi32ELi16ELi16ELi1ELi1ENS_8SequenceIJLi16ELi8ELi1EEEENSC_IJLi1ELi0ELi2EEEESE_Li2ELi8ELi8ELb0ELi0ENSC_IJLi4ELi32ELi1EEEESE_SE_Li2ELi32ELi32ELb0ELi0ELi1ELi1ENSC_IJLi1ELi16ELi1ELi8EEEELi4ELNS_26BlockGemmPipelineSchedulerE1ELNS_24BlockGemmPipelineVersionE1EDF16bDF16bLb0ELb1ELb0ELi0ELb0EEELb1ELNS_25InMemoryDataOperationEnumE0ELi2ELNS_10TailNumberE2EEEvNT_8ArgumentE
    .private_segment_fixed_size: 0
    .sgpr_count:     32
    .sgpr_spill_count: 0
    .symbol:         _ZN2ck27kernel_gemm_xdl_cshuffle_v3INS_28GridwiseGemm_xdl_cshuffle_v3INS_13tensor_layout4gemm8RowMajorENS3_11ColumnMajorES4_DF16bNS_7pk_i4_tEfDF16bDF16bNS_16tensor_operation12element_wise11PassThroughES9_S9_LNS7_6device18GemmSpecializationE0ELi128ELi16ELi64ELi128ELi8ELi32ELi16ELi16ELi1ELi1ENS_8SequenceIJLi16ELi8ELi1EEEENSC_IJLi1ELi0ELi2EEEESE_Li2ELi8ELi8ELb0ELi0ENSC_IJLi4ELi32ELi1EEEESE_SE_Li2ELi32ELi32ELb0ELi0ELi1ELi1ENSC_IJLi1ELi16ELi1ELi8EEEELi4ELNS_26BlockGemmPipelineSchedulerE1ELNS_24BlockGemmPipelineVersionE1EDF16bDF16bLb0ELb1ELb0ELi0ELb0EEELb1ELNS_25InMemoryDataOperationEnumE0ELi2ELNS_10TailNumberE2EEEvNT_8ArgumentE.kd
    .uniform_work_group_size: 1
    .uses_dynamic_stack: false
    .vgpr_count:     143
    .vgpr_spill_count: 0
    .wavefront_size: 32
    .workgroup_processor_mode: 1
  - .args:
      - .offset:         0
        .size:           112
        .value_kind:     by_value
    .group_segment_fixed_size: 8192
    .kernarg_segment_align: 8
    .kernarg_segment_size: 112
    .language:       OpenCL C
    .language_version:
      - 2
      - 0
    .max_flat_workgroup_size: 128
    .name:           _ZN2ck27kernel_gemm_xdl_cshuffle_v3INS_28GridwiseGemm_xdl_cshuffle_v3INS_13tensor_layout4gemm8RowMajorENS3_11ColumnMajorES4_DF16bNS_7pk_i4_tEfDF16bDF16bNS_16tensor_operation12element_wise11PassThroughES9_S9_LNS7_6device18GemmSpecializationE0ELi128ELi16ELi64ELi128ELi8ELi32ELi16ELi16ELi1ELi1ENS_8SequenceIJLi16ELi8ELi1EEEENSC_IJLi1ELi0ELi2EEEESE_Li2ELi8ELi8ELb0ELi0ENSC_IJLi4ELi32ELi1EEEESE_SE_Li2ELi32ELi32ELb0ELi0ELi1ELi1ENSC_IJLi1ELi16ELi1ELi8EEEELi4ELNS_26BlockGemmPipelineSchedulerE1ELNS_24BlockGemmPipelineVersionE1EDF16bDF16bLb0ELb1ELb0ELi0ELb0EEELb1ELNS_25InMemoryDataOperationEnumE0ELi2ELNS_10TailNumberE10EEEvNT_8ArgumentE
    .private_segment_fixed_size: 0
    .sgpr_count:     32
    .sgpr_spill_count: 0
    .symbol:         _ZN2ck27kernel_gemm_xdl_cshuffle_v3INS_28GridwiseGemm_xdl_cshuffle_v3INS_13tensor_layout4gemm8RowMajorENS3_11ColumnMajorES4_DF16bNS_7pk_i4_tEfDF16bDF16bNS_16tensor_operation12element_wise11PassThroughES9_S9_LNS7_6device18GemmSpecializationE0ELi128ELi16ELi64ELi128ELi8ELi32ELi16ELi16ELi1ELi1ENS_8SequenceIJLi16ELi8ELi1EEEENSC_IJLi1ELi0ELi2EEEESE_Li2ELi8ELi8ELb0ELi0ENSC_IJLi4ELi32ELi1EEEESE_SE_Li2ELi32ELi32ELb0ELi0ELi1ELi1ENSC_IJLi1ELi16ELi1ELi8EEEELi4ELNS_26BlockGemmPipelineSchedulerE1ELNS_24BlockGemmPipelineVersionE1EDF16bDF16bLb0ELb1ELb0ELi0ELb0EEELb1ELNS_25InMemoryDataOperationEnumE0ELi2ELNS_10TailNumberE10EEEvNT_8ArgumentE.kd
    .uniform_work_group_size: 1
    .uses_dynamic_stack: false
    .vgpr_count:     149
    .vgpr_spill_count: 0
    .wavefront_size: 32
    .workgroup_processor_mode: 1
  - .args:
      - .offset:         0
        .size:           112
        .value_kind:     by_value
    .group_segment_fixed_size: 8192
    .kernarg_segment_align: 8
    .kernarg_segment_size: 112
    .language:       OpenCL C
    .language_version:
      - 2
      - 0
    .max_flat_workgroup_size: 128
    .name:           _ZN2ck27kernel_gemm_xdl_cshuffle_v3INS_28GridwiseGemm_xdl_cshuffle_v3INS_13tensor_layout4gemm8RowMajorENS3_11ColumnMajorES4_DF16bNS_7pk_i4_tEfDF16bDF16bNS_16tensor_operation12element_wise11PassThroughES9_S9_LNS7_6device18GemmSpecializationE0ELi128ELi16ELi64ELi128ELi8ELi32ELi16ELi16ELi1ELi1ENS_8SequenceIJLi16ELi8ELi1EEEENSC_IJLi1ELi0ELi2EEEESE_Li2ELi8ELi8ELb0ELi0ENSC_IJLi4ELi32ELi1EEEESE_SE_Li2ELi32ELi32ELb0ELi0ELi1ELi1ENSC_IJLi1ELi16ELi1ELi8EEEELi4ELNS_26BlockGemmPipelineSchedulerE1ELNS_24BlockGemmPipelineVersionE1EDF16bDF16bLb0ELb1ELb0ELi0ELb0EEELb1ELNS_25InMemoryDataOperationEnumE0ELi2ELNS_10TailNumberE3EEEvNT_8ArgumentE
    .private_segment_fixed_size: 0
    .sgpr_count:     32
    .sgpr_spill_count: 0
    .symbol:         _ZN2ck27kernel_gemm_xdl_cshuffle_v3INS_28GridwiseGemm_xdl_cshuffle_v3INS_13tensor_layout4gemm8RowMajorENS3_11ColumnMajorES4_DF16bNS_7pk_i4_tEfDF16bDF16bNS_16tensor_operation12element_wise11PassThroughES9_S9_LNS7_6device18GemmSpecializationE0ELi128ELi16ELi64ELi128ELi8ELi32ELi16ELi16ELi1ELi1ENS_8SequenceIJLi16ELi8ELi1EEEENSC_IJLi1ELi0ELi2EEEESE_Li2ELi8ELi8ELb0ELi0ENSC_IJLi4ELi32ELi1EEEESE_SE_Li2ELi32ELi32ELb0ELi0ELi1ELi1ENSC_IJLi1ELi16ELi1ELi8EEEELi4ELNS_26BlockGemmPipelineSchedulerE1ELNS_24BlockGemmPipelineVersionE1EDF16bDF16bLb0ELb1ELb0ELi0ELb0EEELb1ELNS_25InMemoryDataOperationEnumE0ELi2ELNS_10TailNumberE3EEEvNT_8ArgumentE.kd
    .uniform_work_group_size: 1
    .uses_dynamic_stack: false
    .vgpr_count:     148
    .vgpr_spill_count: 0
    .wavefront_size: 32
    .workgroup_processor_mode: 1
amdhsa.target:   amdgcn-amd-amdhsa--gfx1201
amdhsa.version:
  - 1
  - 2
...

	.end_amdgpu_metadata
